;; amdgpu-corpus repo=zjin-lcf/HeCBench kind=compiled arch=gfx1250 opt=O3
	.amdgcn_target "amdgcn-amd-amdhsa--gfx1250"
	.amdhsa_code_object_version 6
	.text
	.protected	_Z16integrateSystemKP15HIP_vector_typeIfLj4EES1_11simParams_tfj ; -- Begin function _Z16integrateSystemKP15HIP_vector_typeIfLj4EES1_11simParams_tfj
	.globl	_Z16integrateSystemKP15HIP_vector_typeIfLj4EES1_11simParams_tfj
	.p2align	8
	.type	_Z16integrateSystemKP15HIP_vector_typeIfLj4EES1_11simParams_tfj,@function
_Z16integrateSystemKP15HIP_vector_typeIfLj4EES1_11simParams_tfj: ; @_Z16integrateSystemKP15HIP_vector_typeIfLj4EES1_11simParams_tfj
; %bb.0:
	s_clause 0x1
	s_load_b32 s4, s[0:1], 0x8c
	s_load_b64 s[2:3], s[0:1], 0x78
	s_bfe_u32 s5, ttmp6, 0x4000c
	s_and_b32 s6, ttmp6, 15
	s_add_co_i32 s5, s5, 1
	s_getreg_b32 s7, hwreg(HW_REG_IB_STS2, 6, 4)
	s_mul_i32 s5, ttmp9, s5
	s_delay_alu instid0(SALU_CYCLE_1) | instskip(SKIP_4) | instid1(SALU_CYCLE_1)
	s_add_co_i32 s6, s6, s5
	s_wait_kmcnt 0x0
	s_and_b32 s4, s4, 0xffff
	s_cmp_eq_u32 s7, 0
	s_cselect_b32 s5, ttmp9, s6
	v_mad_u32 v0, s5, s4, v0
	s_mov_b32 s4, exec_lo
	s_delay_alu instid0(VALU_DEP_1)
	v_cmpx_gt_u32_e64 s3, v0
	s_cbranch_execz .LBB0_2
; %bb.1:
	s_clause 0x2
	s_load_b128 s[4:7], s[0:1], 0x0
	s_load_b128 s[8:11], s[0:1], 0x20
	s_load_b96 s[12:14], s[0:1], 0x28
	s_wait_kmcnt 0x0
	s_clause 0x1
	global_load_b128 v[2:5], v0, s[6:7] scale_offset
	global_load_b128 v[6:9], v0, s[4:5] scale_offset
	v_mov_b64_e32 v[10:11], s[8:9]
	s_load_b32 s8, s[0:1], 0x74
	s_wait_loadcnt 0x1
	v_dual_mov_b32 v5, 0 :: v_dual_mov_b32 v12, s12
	v_mov_b64_e32 v[14:15], s[12:13]
	s_wait_loadcnt 0x0
	v_mov_b32_e32 v9, 1.0
	s_wait_xcnt 0x0
	s_add_f32 s1, s14, -1.0
	v_mov_b32_e32 v13, v5
	v_pk_fma_f32 v[2:3], s[2:3], v[10:11], v[2:3] op_sel_hi:[0,1,1]
	s_delay_alu instid0(VALU_DEP_2) | instskip(NEXT) | instid1(VALU_DEP_2)
	v_pk_fma_f32 v[4:5], s[2:3], v[12:13], v[4:5] op_sel_hi:[0,1,1]
	v_pk_mul_f32 v[10:11], v[14:15], v[2:3] op_sel:[1,0]
	s_delay_alu instid0(VALU_DEP_2) | instskip(SKIP_1) | instid1(VALU_DEP_2)
	v_pk_mul_f32 v[12:13], v[14:15], v[4:5] op_sel:[1,0]
	s_wait_kmcnt 0x0
	v_dual_mov_b32 v2, s1 :: v_dual_mul_f32 v1, s8, v10
	s_delay_alu instid0(VALU_DEP_3) | instskip(NEXT) | instid1(VALU_DEP_3)
	v_pk_fma_f32 v[6:7], s[2:3], v[10:11], v[6:7] op_sel_hi:[0,1,1]
	v_pk_fma_f32 v[4:5], s[2:3], v[12:13], v[8:9] op_sel_hi:[0,1,1]
	s_sub_f32 s2, 1.0, s14
	s_delay_alu instid0(VALU_DEP_2) | instskip(NEXT) | instid1(VALU_DEP_2)
	v_cmp_gt_f32_e32 vcc_lo, s1, v6
	v_dual_cndmask_b32 v5, v5, v5, vcc_lo :: v_dual_cndmask_b32 v3, v4, v4, vcc_lo
	v_dual_cndmask_b32 v4, v7, v7, vcc_lo :: v_dual_cndmask_b32 v2, v6, v2, vcc_lo
	v_dual_cndmask_b32 v6, v11, v11 :: v_dual_cndmask_b32 v9, v13, v13
	v_dual_cndmask_b32 v7, v12, v12, vcc_lo :: v_dual_cndmask_b32 v1, v10, v1, vcc_lo
	s_delay_alu instid0(VALU_DEP_3) | instskip(SKIP_1) | instid1(VALU_DEP_3)
	v_cmp_gt_f32_e32 vcc_lo, s1, v4
	v_cmp_gt_f32_e64 s0, s1, v3
	v_dual_mul_f32 v8, s8, v6 :: v_dual_mul_f32 v10, s8, v7
	s_delay_alu instid0(VALU_DEP_4) | instskip(SKIP_1) | instid1(VALU_DEP_4)
	v_mul_f32_e32 v11, s8, v1
	v_cndmask_b32_e64 v4, v4, s1, vcc_lo
	v_cndmask_b32_e64 v12, v3, s1, s0
	s_delay_alu instid0(VALU_DEP_4) | instskip(SKIP_1) | instid1(VALU_DEP_4)
	v_dual_cndmask_b32 v8, v6, v8, vcc_lo :: v_dual_cndmask_b32 v10, v7, v10, s0
	v_cmp_lt_f32_e32 vcc_lo, s2, v2
	v_cmp_lt_f32_e64 s0, s2, v4
	s_delay_alu instid0(VALU_DEP_4) | instskip(NEXT) | instid1(VALU_DEP_4)
	v_cmp_lt_f32_e64 s1, s2, v12
	v_dual_mul_f32 v7, s8, v8 :: v_dual_mul_f32 v13, s8, v10
	v_cndmask_b32_e32 v6, v1, v11, vcc_lo
	v_cndmask_b32_e64 v2, v2, s2, vcc_lo
	v_cndmask_b32_e64 v3, v4, s2, s0
	v_cndmask_b32_e64 v4, v12, s2, s1
	v_dual_cndmask_b32 v7, v8, v7, s0 :: v_dual_cndmask_b32 v8, v10, v13, s1
	s_clause 0x1
	global_store_b128 v0, v[2:5], s[4:5] scale_offset
	global_store_b128 v0, v[6:9], s[6:7] scale_offset
.LBB0_2:
	s_endpgm
	.section	.rodata,"a",@progbits
	.p2align	6, 0x0
	.amdhsa_kernel _Z16integrateSystemKP15HIP_vector_typeIfLj4EES1_11simParams_tfj
		.amdhsa_group_segment_fixed_size 0
		.amdhsa_private_segment_fixed_size 0
		.amdhsa_kernarg_size 384
		.amdhsa_user_sgpr_count 2
		.amdhsa_user_sgpr_dispatch_ptr 0
		.amdhsa_user_sgpr_queue_ptr 0
		.amdhsa_user_sgpr_kernarg_segment_ptr 1
		.amdhsa_user_sgpr_dispatch_id 0
		.amdhsa_user_sgpr_kernarg_preload_length 0
		.amdhsa_user_sgpr_kernarg_preload_offset 0
		.amdhsa_user_sgpr_private_segment_size 0
		.amdhsa_wavefront_size32 1
		.amdhsa_uses_dynamic_stack 0
		.amdhsa_enable_private_segment 0
		.amdhsa_system_sgpr_workgroup_id_x 1
		.amdhsa_system_sgpr_workgroup_id_y 0
		.amdhsa_system_sgpr_workgroup_id_z 0
		.amdhsa_system_sgpr_workgroup_info 0
		.amdhsa_system_vgpr_workitem_id 0
		.amdhsa_next_free_vgpr 16
		.amdhsa_next_free_sgpr 15
		.amdhsa_named_barrier_count 0
		.amdhsa_reserve_vcc 1
		.amdhsa_float_round_mode_32 0
		.amdhsa_float_round_mode_16_64 0
		.amdhsa_float_denorm_mode_32 3
		.amdhsa_float_denorm_mode_16_64 3
		.amdhsa_fp16_overflow 0
		.amdhsa_memory_ordered 1
		.amdhsa_forward_progress 1
		.amdhsa_inst_pref_size 4
		.amdhsa_round_robin_scheduling 0
		.amdhsa_exception_fp_ieee_invalid_op 0
		.amdhsa_exception_fp_denorm_src 0
		.amdhsa_exception_fp_ieee_div_zero 0
		.amdhsa_exception_fp_ieee_overflow 0
		.amdhsa_exception_fp_ieee_underflow 0
		.amdhsa_exception_fp_ieee_inexact 0
		.amdhsa_exception_int_div_zero 0
	.end_amdhsa_kernel
	.text
.Lfunc_end0:
	.size	_Z16integrateSystemKP15HIP_vector_typeIfLj4EES1_11simParams_tfj, .Lfunc_end0-_Z16integrateSystemKP15HIP_vector_typeIfLj4EES1_11simParams_tfj
                                        ; -- End function
	.set _Z16integrateSystemKP15HIP_vector_typeIfLj4EES1_11simParams_tfj.num_vgpr, 16
	.set _Z16integrateSystemKP15HIP_vector_typeIfLj4EES1_11simParams_tfj.num_agpr, 0
	.set _Z16integrateSystemKP15HIP_vector_typeIfLj4EES1_11simParams_tfj.numbered_sgpr, 15
	.set _Z16integrateSystemKP15HIP_vector_typeIfLj4EES1_11simParams_tfj.num_named_barrier, 0
	.set _Z16integrateSystemKP15HIP_vector_typeIfLj4EES1_11simParams_tfj.private_seg_size, 0
	.set _Z16integrateSystemKP15HIP_vector_typeIfLj4EES1_11simParams_tfj.uses_vcc, 1
	.set _Z16integrateSystemKP15HIP_vector_typeIfLj4EES1_11simParams_tfj.uses_flat_scratch, 0
	.set _Z16integrateSystemKP15HIP_vector_typeIfLj4EES1_11simParams_tfj.has_dyn_sized_stack, 0
	.set _Z16integrateSystemKP15HIP_vector_typeIfLj4EES1_11simParams_tfj.has_recursion, 0
	.set _Z16integrateSystemKP15HIP_vector_typeIfLj4EES1_11simParams_tfj.has_indirect_call, 0
	.section	.AMDGPU.csdata,"",@progbits
; Kernel info:
; codeLenInByte = 512
; TotalNumSgprs: 17
; NumVgprs: 16
; ScratchSize: 0
; MemoryBound: 0
; FloatMode: 240
; IeeeMode: 1
; LDSByteSize: 0 bytes/workgroup (compile time only)
; SGPRBlocks: 0
; VGPRBlocks: 0
; NumSGPRsForWavesPerEU: 17
; NumVGPRsForWavesPerEU: 16
; NamedBarCnt: 0
; Occupancy: 16
; WaveLimiterHint : 1
; COMPUTE_PGM_RSRC2:SCRATCH_EN: 0
; COMPUTE_PGM_RSRC2:USER_SGPR: 2
; COMPUTE_PGM_RSRC2:TRAP_HANDLER: 0
; COMPUTE_PGM_RSRC2:TGID_X_EN: 1
; COMPUTE_PGM_RSRC2:TGID_Y_EN: 0
; COMPUTE_PGM_RSRC2:TGID_Z_EN: 0
; COMPUTE_PGM_RSRC2:TIDIG_COMP_CNT: 0
	.text
	.protected	_Z9calcHashKPjS_PK15HIP_vector_typeIfLj4EE11simParams_tj ; -- Begin function _Z9calcHashKPjS_PK15HIP_vector_typeIfLj4EE11simParams_tj
	.globl	_Z9calcHashKPjS_PK15HIP_vector_typeIfLj4EE11simParams_tj
	.p2align	8
	.type	_Z9calcHashKPjS_PK15HIP_vector_typeIfLj4EE11simParams_tj,@function
_Z9calcHashKPjS_PK15HIP_vector_typeIfLj4EE11simParams_tj: ; @_Z9calcHashKPjS_PK15HIP_vector_typeIfLj4EE11simParams_tj
; %bb.0:
	s_clause 0x1
	s_load_b32 s2, s[0:1], 0x94
	s_load_b32 s3, s[0:1], 0x80
	s_bfe_u32 s4, ttmp6, 0x4000c
	s_and_b32 s5, ttmp6, 15
	s_add_co_i32 s4, s4, 1
	s_getreg_b32 s6, hwreg(HW_REG_IB_STS2, 6, 4)
	s_mul_i32 s4, ttmp9, s4
	s_delay_alu instid0(SALU_CYCLE_1) | instskip(SKIP_4) | instid1(SALU_CYCLE_1)
	s_add_co_i32 s5, s5, s4
	s_wait_kmcnt 0x0
	s_and_b32 s2, s2, 0xffff
	s_cmp_eq_u32 s6, 0
	s_cselect_b32 s4, ttmp9, s5
	v_mad_u32 v0, s4, s2, v0
	s_mov_b32 s2, exec_lo
	s_delay_alu instid0(VALU_DEP_1)
	v_cmpx_gt_u32_e64 s3, v0
	s_cbranch_execz .LBB1_2
; %bb.1:
	s_load_b64 s[2:3], s[0:1], 0x10
	v_mov_b32_e32 v1, 0
	s_wait_kmcnt 0x0
	s_delay_alu instid0(VALU_DEP_1)
	v_lshl_add_u64 v[2:3], v[0:1], 4, s[2:3]
	global_load_b96 v[2:4], v[2:3], off
	s_clause 0x1
	s_load_b128 s[4:7], s[0:1], 0x4c
	s_load_b64 s[8:9], s[0:1], 0x5c
	s_wait_loadcnt 0x0
	s_wait_kmcnt 0x0
	v_dual_subrev_f32 v1, s4, v2 :: v_dual_subrev_f32 v2, s5, v3
	v_subrev_f32_e32 v3, s6, v4
	s_load_b96 s[4:6], s[0:1], 0x3c
	s_delay_alu instid0(VALU_DEP_2) | instskip(NEXT) | instid1(VALU_DEP_3)
	v_div_scale_f32 v4, null, s7, s7, v1
	v_div_scale_f32 v5, null, s8, s8, v2
	s_delay_alu instid0(VALU_DEP_3) | instskip(NEXT) | instid1(VALU_DEP_3)
	v_div_scale_f32 v6, null, s9, s9, v3
	v_rcp_f32_e32 v7, v4
	s_delay_alu instid0(VALU_DEP_2) | instskip(SKIP_1) | instid1(VALU_DEP_2)
	v_rcp_f32_e32 v8, v5
	v_div_scale_f32 v10, vcc_lo, v1, s7, v1
	v_rcp_f32_e32 v9, v6
	v_div_scale_f32 v11, s2, v2, s8, v2
	s_delay_alu instid0(TRANS32_DEP_3) | instskip(NEXT) | instid1(TRANS32_DEP_2)
	v_fma_f32 v12, -v4, v7, 1.0
	v_fma_f32 v13, -v5, v8, 1.0
	v_div_scale_f32 v15, s3, v3, s9, v3
	s_delay_alu instid0(TRANS32_DEP_1) | instskip(NEXT) | instid1(VALU_DEP_3)
	v_fma_f32 v14, -v6, v9, 1.0
	v_dual_fmac_f32 v7, v12, v7 :: v_dual_fmac_f32 v8, v13, v8
	s_delay_alu instid0(VALU_DEP_1) | instskip(NEXT) | instid1(VALU_DEP_1)
	v_dual_fmac_f32 v9, v14, v9 :: v_dual_mul_f32 v13, v11, v8
	v_dual_mul_f32 v12, v10, v7 :: v_dual_mul_f32 v14, v15, v9
	s_delay_alu instid0(VALU_DEP_1) | instskip(NEXT) | instid1(VALU_DEP_1)
	v_dual_fma_f32 v17, -v5, v13, v11 :: v_dual_fma_f32 v16, -v4, v12, v10
	v_dual_fma_f32 v18, -v6, v14, v15 :: v_dual_fmac_f32 v12, v16, v7
	s_delay_alu instid0(VALU_DEP_1) | instskip(NEXT) | instid1(VALU_DEP_1)
	v_dual_fmac_f32 v13, v17, v8 :: v_dual_fmac_f32 v14, v18, v9
	v_dual_fma_f32 v4, -v4, v12, v10 :: v_dual_fma_f32 v5, -v5, v13, v11
	s_delay_alu instid0(VALU_DEP_1)
	v_div_fmas_f32 v4, v4, v7, v12
	s_mov_b32 vcc_lo, s2
	s_wait_kmcnt 0x0
	s_add_co_i32 s2, s5, -1
	v_div_fmas_f32 v5, v5, v8, v13
	s_mov_b32 vcc_lo, s3
	s_add_co_i32 s3, s6, -1
	v_fma_f32 v6, -v6, v14, v15
	v_div_fixup_f32 v1, v4, s7, v1
	v_div_fixup_f32 v2, v5, s8, v2
	s_delay_alu instid0(VALU_DEP_3) | instskip(NEXT) | instid1(VALU_DEP_3)
	v_div_fmas_f32 v6, v6, v9, v14
	v_floor_f32_e32 v1, v1
	s_delay_alu instid0(VALU_DEP_3) | instskip(NEXT) | instid1(VALU_DEP_3)
	v_floor_f32_e32 v2, v2
	v_div_fixup_f32 v3, v6, s9, v3
	s_delay_alu instid0(VALU_DEP_3) | instskip(NEXT) | instid1(VALU_DEP_3)
	v_cvt_i32_f32_e32 v1, v1
	v_cvt_i32_f32_e32 v2, v2
	s_delay_alu instid0(VALU_DEP_3) | instskip(NEXT) | instid1(VALU_DEP_2)
	v_floor_f32_e32 v3, v3
	v_and_b32_e32 v2, s2, v2
	s_delay_alu instid0(VALU_DEP_2) | instskip(NEXT) | instid1(VALU_DEP_1)
	v_cvt_i32_f32_e32 v3, v3
	v_and_b32_e32 v3, s3, v3
	s_load_b128 s[0:3], s[0:1], 0x0
	s_delay_alu instid0(VALU_DEP_1) | instskip(SKIP_1) | instid1(SALU_CYCLE_1)
	v_mad_u32 v2, v3, s5, v2
	s_add_co_i32 s5, s4, -1
	v_and_b32_e32 v1, s5, v1
	s_delay_alu instid0(VALU_DEP_1)
	v_mad_u32 v1, v2, s4, v1
	s_wait_kmcnt 0x0
	s_clause 0x1
	global_store_b32 v0, v1, s[0:1] scale_offset
	global_store_b32 v0, v0, s[2:3] scale_offset
.LBB1_2:
	s_endpgm
	.section	.rodata,"a",@progbits
	.p2align	6, 0x0
	.amdhsa_kernel _Z9calcHashKPjS_PK15HIP_vector_typeIfLj4EE11simParams_tj
		.amdhsa_group_segment_fixed_size 0
		.amdhsa_private_segment_fixed_size 0
		.amdhsa_kernarg_size 392
		.amdhsa_user_sgpr_count 2
		.amdhsa_user_sgpr_dispatch_ptr 0
		.amdhsa_user_sgpr_queue_ptr 0
		.amdhsa_user_sgpr_kernarg_segment_ptr 1
		.amdhsa_user_sgpr_dispatch_id 0
		.amdhsa_user_sgpr_kernarg_preload_length 0
		.amdhsa_user_sgpr_kernarg_preload_offset 0
		.amdhsa_user_sgpr_private_segment_size 0
		.amdhsa_wavefront_size32 1
		.amdhsa_uses_dynamic_stack 0
		.amdhsa_enable_private_segment 0
		.amdhsa_system_sgpr_workgroup_id_x 1
		.amdhsa_system_sgpr_workgroup_id_y 0
		.amdhsa_system_sgpr_workgroup_id_z 0
		.amdhsa_system_sgpr_workgroup_info 0
		.amdhsa_system_vgpr_workitem_id 0
		.amdhsa_next_free_vgpr 19
		.amdhsa_next_free_sgpr 10
		.amdhsa_named_barrier_count 0
		.amdhsa_reserve_vcc 1
		.amdhsa_float_round_mode_32 0
		.amdhsa_float_round_mode_16_64 0
		.amdhsa_float_denorm_mode_32 3
		.amdhsa_float_denorm_mode_16_64 3
		.amdhsa_fp16_overflow 0
		.amdhsa_memory_ordered 1
		.amdhsa_forward_progress 1
		.amdhsa_inst_pref_size 5
		.amdhsa_round_robin_scheduling 0
		.amdhsa_exception_fp_ieee_invalid_op 0
		.amdhsa_exception_fp_denorm_src 0
		.amdhsa_exception_fp_ieee_div_zero 0
		.amdhsa_exception_fp_ieee_overflow 0
		.amdhsa_exception_fp_ieee_underflow 0
		.amdhsa_exception_fp_ieee_inexact 0
		.amdhsa_exception_int_div_zero 0
	.end_amdhsa_kernel
	.text
.Lfunc_end1:
	.size	_Z9calcHashKPjS_PK15HIP_vector_typeIfLj4EE11simParams_tj, .Lfunc_end1-_Z9calcHashKPjS_PK15HIP_vector_typeIfLj4EE11simParams_tj
                                        ; -- End function
	.set _Z9calcHashKPjS_PK15HIP_vector_typeIfLj4EE11simParams_tj.num_vgpr, 19
	.set _Z9calcHashKPjS_PK15HIP_vector_typeIfLj4EE11simParams_tj.num_agpr, 0
	.set _Z9calcHashKPjS_PK15HIP_vector_typeIfLj4EE11simParams_tj.numbered_sgpr, 10
	.set _Z9calcHashKPjS_PK15HIP_vector_typeIfLj4EE11simParams_tj.num_named_barrier, 0
	.set _Z9calcHashKPjS_PK15HIP_vector_typeIfLj4EE11simParams_tj.private_seg_size, 0
	.set _Z9calcHashKPjS_PK15HIP_vector_typeIfLj4EE11simParams_tj.uses_vcc, 1
	.set _Z9calcHashKPjS_PK15HIP_vector_typeIfLj4EE11simParams_tj.uses_flat_scratch, 0
	.set _Z9calcHashKPjS_PK15HIP_vector_typeIfLj4EE11simParams_tj.has_dyn_sized_stack, 0
	.set _Z9calcHashKPjS_PK15HIP_vector_typeIfLj4EE11simParams_tj.has_recursion, 0
	.set _Z9calcHashKPjS_PK15HIP_vector_typeIfLj4EE11simParams_tj.has_indirect_call, 0
	.section	.AMDGPU.csdata,"",@progbits
; Kernel info:
; codeLenInByte = 588
; TotalNumSgprs: 12
; NumVgprs: 19
; ScratchSize: 0
; MemoryBound: 0
; FloatMode: 240
; IeeeMode: 1
; LDSByteSize: 0 bytes/workgroup (compile time only)
; SGPRBlocks: 0
; VGPRBlocks: 1
; NumSGPRsForWavesPerEU: 12
; NumVGPRsForWavesPerEU: 19
; NamedBarCnt: 0
; Occupancy: 16
; WaveLimiterHint : 0
; COMPUTE_PGM_RSRC2:SCRATCH_EN: 0
; COMPUTE_PGM_RSRC2:USER_SGPR: 2
; COMPUTE_PGM_RSRC2:TRAP_HANDLER: 0
; COMPUTE_PGM_RSRC2:TGID_X_EN: 1
; COMPUTE_PGM_RSRC2:TGID_Y_EN: 0
; COMPUTE_PGM_RSRC2:TGID_Z_EN: 0
; COMPUTE_PGM_RSRC2:TIDIG_COMP_CNT: 0
	.text
	.protected	_Z7memSetKPjjj          ; -- Begin function _Z7memSetKPjjj
	.globl	_Z7memSetKPjjj
	.p2align	8
	.type	_Z7memSetKPjjj,@function
_Z7memSetKPjjj:                         ; @_Z7memSetKPjjj
; %bb.0:
	s_clause 0x1
	s_load_b32 s4, s[0:1], 0x1c
	s_load_b64 s[2:3], s[0:1], 0x8
	s_bfe_u32 s5, ttmp6, 0x4000c
	s_and_b32 s6, ttmp6, 15
	s_add_co_i32 s5, s5, 1
	s_getreg_b32 s7, hwreg(HW_REG_IB_STS2, 6, 4)
	s_mul_i32 s5, ttmp9, s5
	s_delay_alu instid0(SALU_CYCLE_1) | instskip(SKIP_4) | instid1(SALU_CYCLE_1)
	s_add_co_i32 s6, s6, s5
	s_wait_kmcnt 0x0
	s_and_b32 s4, s4, 0xffff
	s_cmp_eq_u32 s7, 0
	s_cselect_b32 s5, ttmp9, s6
	v_mad_u32 v0, s5, s4, v0
	s_delay_alu instid0(VALU_DEP_1)
	v_cmp_gt_u32_e32 vcc_lo, s3, v0
	s_and_saveexec_b32 s3, vcc_lo
	s_cbranch_execz .LBB2_2
; %bb.1:
	s_load_b64 s[0:1], s[0:1], 0x0
	v_mov_b32_e32 v1, s2
	s_wait_kmcnt 0x0
	global_store_b32 v0, v1, s[0:1] scale_offset
.LBB2_2:
	s_endpgm
	.section	.rodata,"a",@progbits
	.p2align	6, 0x0
	.amdhsa_kernel _Z7memSetKPjjj
		.amdhsa_group_segment_fixed_size 0
		.amdhsa_private_segment_fixed_size 0
		.amdhsa_kernarg_size 272
		.amdhsa_user_sgpr_count 2
		.amdhsa_user_sgpr_dispatch_ptr 0
		.amdhsa_user_sgpr_queue_ptr 0
		.amdhsa_user_sgpr_kernarg_segment_ptr 1
		.amdhsa_user_sgpr_dispatch_id 0
		.amdhsa_user_sgpr_kernarg_preload_length 0
		.amdhsa_user_sgpr_kernarg_preload_offset 0
		.amdhsa_user_sgpr_private_segment_size 0
		.amdhsa_wavefront_size32 1
		.amdhsa_uses_dynamic_stack 0
		.amdhsa_enable_private_segment 0
		.amdhsa_system_sgpr_workgroup_id_x 1
		.amdhsa_system_sgpr_workgroup_id_y 0
		.amdhsa_system_sgpr_workgroup_id_z 0
		.amdhsa_system_sgpr_workgroup_info 0
		.amdhsa_system_vgpr_workitem_id 0
		.amdhsa_next_free_vgpr 2
		.amdhsa_next_free_sgpr 8
		.amdhsa_named_barrier_count 0
		.amdhsa_reserve_vcc 1
		.amdhsa_float_round_mode_32 0
		.amdhsa_float_round_mode_16_64 0
		.amdhsa_float_denorm_mode_32 3
		.amdhsa_float_denorm_mode_16_64 3
		.amdhsa_fp16_overflow 0
		.amdhsa_memory_ordered 1
		.amdhsa_forward_progress 1
		.amdhsa_inst_pref_size 1
		.amdhsa_round_robin_scheduling 0
		.amdhsa_exception_fp_ieee_invalid_op 0
		.amdhsa_exception_fp_denorm_src 0
		.amdhsa_exception_fp_ieee_div_zero 0
		.amdhsa_exception_fp_ieee_overflow 0
		.amdhsa_exception_fp_ieee_underflow 0
		.amdhsa_exception_fp_ieee_inexact 0
		.amdhsa_exception_int_div_zero 0
	.end_amdhsa_kernel
	.text
.Lfunc_end2:
	.size	_Z7memSetKPjjj, .Lfunc_end2-_Z7memSetKPjjj
                                        ; -- End function
	.set _Z7memSetKPjjj.num_vgpr, 2
	.set _Z7memSetKPjjj.num_agpr, 0
	.set _Z7memSetKPjjj.numbered_sgpr, 8
	.set _Z7memSetKPjjj.num_named_barrier, 0
	.set _Z7memSetKPjjj.private_seg_size, 0
	.set _Z7memSetKPjjj.uses_vcc, 1
	.set _Z7memSetKPjjj.uses_flat_scratch, 0
	.set _Z7memSetKPjjj.has_dyn_sized_stack, 0
	.set _Z7memSetKPjjj.has_recursion, 0
	.set _Z7memSetKPjjj.has_indirect_call, 0
	.section	.AMDGPU.csdata,"",@progbits
; Kernel info:
; codeLenInByte = 128
; TotalNumSgprs: 10
; NumVgprs: 2
; ScratchSize: 0
; MemoryBound: 0
; FloatMode: 240
; IeeeMode: 1
; LDSByteSize: 0 bytes/workgroup (compile time only)
; SGPRBlocks: 0
; VGPRBlocks: 0
; NumSGPRsForWavesPerEU: 10
; NumVGPRsForWavesPerEU: 2
; NamedBarCnt: 0
; Occupancy: 16
; WaveLimiterHint : 0
; COMPUTE_PGM_RSRC2:SCRATCH_EN: 0
; COMPUTE_PGM_RSRC2:USER_SGPR: 2
; COMPUTE_PGM_RSRC2:TRAP_HANDLER: 0
; COMPUTE_PGM_RSRC2:TGID_X_EN: 1
; COMPUTE_PGM_RSRC2:TGID_Y_EN: 0
; COMPUTE_PGM_RSRC2:TGID_Z_EN: 0
; COMPUTE_PGM_RSRC2:TIDIG_COMP_CNT: 0
	.text
	.protected	_Z25findCellBoundsAndReorderKPjS_P15HIP_vector_typeIfLj4EES2_PKjS4_PKS1_S6_j ; -- Begin function _Z25findCellBoundsAndReorderKPjS_P15HIP_vector_typeIfLj4EES2_PKjS4_PKS1_S6_j
	.globl	_Z25findCellBoundsAndReorderKPjS_P15HIP_vector_typeIfLj4EES2_PKjS4_PKS1_S6_j
	.p2align	8
	.type	_Z25findCellBoundsAndReorderKPjS_P15HIP_vector_typeIfLj4EES2_PKjS4_PKS1_S6_j,@function
_Z25findCellBoundsAndReorderKPjS_P15HIP_vector_typeIfLj4EES2_PKjS4_PKS1_S6_j: ; @_Z25findCellBoundsAndReorderKPjS_P15HIP_vector_typeIfLj4EES2_PKjS4_PKS1_S6_j
; %bb.0:
	s_clause 0x1
	s_load_b32 s2, s[0:1], 0x54
	s_load_b32 s16, s[0:1], 0x40
	s_bfe_u32 s3, ttmp6, 0x4000c
	s_and_b32 s4, ttmp6, 15
	s_add_co_i32 s3, s3, 1
	s_getreg_b32 s5, hwreg(HW_REG_IB_STS2, 6, 4)
	s_mul_i32 s3, ttmp9, s3
                                        ; implicit-def: $vgpr2
	s_delay_alu instid0(SALU_CYCLE_1) | instskip(SKIP_4) | instid1(SALU_CYCLE_1)
	s_add_co_i32 s4, s4, s3
	s_wait_kmcnt 0x0
	s_and_b32 s2, s2, 0xffff
	s_cmp_eq_u32 s5, 0
	s_cselect_b32 s3, ttmp9, s4
	v_mad_u32 v1, s3, s2, v0
	s_delay_alu instid0(VALU_DEP_1)
	v_cmp_gt_u32_e32 vcc_lo, s16, v1
	s_and_saveexec_b32 s6, vcc_lo
	s_cbranch_execz .LBB3_4
; %bb.1:
	s_load_b64 s[4:5], s[0:1], 0x20
	v_cmp_ne_u32_e64 s2, 0, v1
	v_cmp_eq_u32_e64 s3, 0, v0
	v_lshl_add_u32 v3, v0, 2, 0
	s_and_b32 s3, s3, s2
	s_wait_kmcnt 0x0
	global_load_b32 v2, v1, s[4:5] scale_offset
	s_wait_loadcnt 0x0
	ds_store_b32 v3, v2 offset:4
	s_and_saveexec_b32 s2, s3
	s_cbranch_execz .LBB3_3
; %bb.2:
	v_dual_mov_b32 v4, 0 :: v_dual_add_nc_u32 v3, -1, v1
	global_load_b32 v3, v3, s[4:5] scale_offset
	s_wait_loadcnt 0x0
	ds_store_b32 v4, v3
.LBB3_3:
	s_or_b32 exec_lo, exec_lo, s2
.LBB3_4:
	s_delay_alu instid0(SALU_CYCLE_1)
	s_or_b32 exec_lo, exec_lo, s6
	s_wait_dscnt 0x0
	s_barrier_signal -1
	s_barrier_wait -1
	s_and_saveexec_b32 s2, vcc_lo
	s_cbranch_execz .LBB3_14
; %bb.5:
	s_load_b128 s[4:7], s[0:1], 0x0
	s_mov_b32 s2, exec_lo
	v_cmpx_ne_u32_e32 0, v1
	s_xor_b32 s2, exec_lo, s2
	s_cbranch_execz .LBB3_9
; %bb.6:
	v_lshl_add_u32 v0, v0, 2, 0
	s_mov_b32 s3, exec_lo
	ds_load_b32 v0, v0
	s_wait_dscnt 0x0
	v_cmpx_ne_u32_e64 v2, v0
	s_cbranch_execz .LBB3_8
; %bb.7:
	s_wait_kmcnt 0x0
	global_store_b32 v2, v1, s[4:5] scale_offset
	global_store_b32 v0, v1, s[6:7] scale_offset
.LBB3_8:
	s_wait_xcnt 0x0
	s_or_b32 exec_lo, exec_lo, s3
.LBB3_9:
	s_or_saveexec_b32 s17, s2
	s_clause 0x2
	s_load_b128 s[8:11], s[0:1], 0x10
	s_load_b128 s[12:15], s[0:1], 0x28
	s_load_b64 s[2:3], s[0:1], 0x38
	s_xor_b32 exec_lo, exec_lo, s17
	s_cbranch_execz .LBB3_11
; %bb.10:
	v_mov_b32_e32 v0, 0
	s_wait_kmcnt 0x0
	global_store_b32 v2, v0, s[4:5] scale_offset
.LBB3_11:
	s_wait_xcnt 0x0
	s_or_b32 exec_lo, exec_lo, s17
	s_add_co_i32 s0, s16, -1
	s_delay_alu instid0(SALU_CYCLE_1)
	v_cmp_eq_u32_e32 vcc_lo, s0, v1
	s_and_saveexec_b32 s0, vcc_lo
	s_cbranch_execz .LBB3_13
; %bb.12:
	v_mov_b32_e32 v0, s16
	s_wait_kmcnt 0x0
	global_store_b32 v2, v0, s[6:7] scale_offset
.LBB3_13:
	s_wait_xcnt 0x0
	s_or_b32 exec_lo, exec_lo, s0
	s_wait_kmcnt 0x0
	global_load_b32 v0, v1, s[12:13] scale_offset
	s_wait_loadcnt 0x0
	s_clause 0x1
	global_load_b128 v[2:5], v0, s[14:15] scale_offset
	global_load_b128 v[6:9], v0, s[2:3] scale_offset
	s_wait_loadcnt 0x1
	global_store_b128 v1, v[2:5], s[8:9] scale_offset
	s_wait_loadcnt 0x0
	global_store_b128 v1, v[6:9], s[10:11] scale_offset
.LBB3_14:
	s_endpgm
	.section	.rodata,"a",@progbits
	.p2align	6, 0x0
	.amdhsa_kernel _Z25findCellBoundsAndReorderKPjS_P15HIP_vector_typeIfLj4EES2_PKjS4_PKS1_S6_j
		.amdhsa_group_segment_fixed_size 0
		.amdhsa_private_segment_fixed_size 0
		.amdhsa_kernarg_size 328
		.amdhsa_user_sgpr_count 2
		.amdhsa_user_sgpr_dispatch_ptr 0
		.amdhsa_user_sgpr_queue_ptr 0
		.amdhsa_user_sgpr_kernarg_segment_ptr 1
		.amdhsa_user_sgpr_dispatch_id 0
		.amdhsa_user_sgpr_kernarg_preload_length 0
		.amdhsa_user_sgpr_kernarg_preload_offset 0
		.amdhsa_user_sgpr_private_segment_size 0
		.amdhsa_wavefront_size32 1
		.amdhsa_uses_dynamic_stack 0
		.amdhsa_enable_private_segment 0
		.amdhsa_system_sgpr_workgroup_id_x 1
		.amdhsa_system_sgpr_workgroup_id_y 0
		.amdhsa_system_sgpr_workgroup_id_z 0
		.amdhsa_system_sgpr_workgroup_info 0
		.amdhsa_system_vgpr_workitem_id 0
		.amdhsa_next_free_vgpr 10
		.amdhsa_next_free_sgpr 18
		.amdhsa_named_barrier_count 0
		.amdhsa_reserve_vcc 1
		.amdhsa_float_round_mode_32 0
		.amdhsa_float_round_mode_16_64 0
		.amdhsa_float_denorm_mode_32 3
		.amdhsa_float_denorm_mode_16_64 3
		.amdhsa_fp16_overflow 0
		.amdhsa_memory_ordered 1
		.amdhsa_forward_progress 1
		.amdhsa_inst_pref_size 5
		.amdhsa_round_robin_scheduling 0
		.amdhsa_exception_fp_ieee_invalid_op 0
		.amdhsa_exception_fp_denorm_src 0
		.amdhsa_exception_fp_ieee_div_zero 0
		.amdhsa_exception_fp_ieee_overflow 0
		.amdhsa_exception_fp_ieee_underflow 0
		.amdhsa_exception_fp_ieee_inexact 0
		.amdhsa_exception_int_div_zero 0
	.end_amdhsa_kernel
	.text
.Lfunc_end3:
	.size	_Z25findCellBoundsAndReorderKPjS_P15HIP_vector_typeIfLj4EES2_PKjS4_PKS1_S6_j, .Lfunc_end3-_Z25findCellBoundsAndReorderKPjS_P15HIP_vector_typeIfLj4EES2_PKjS4_PKS1_S6_j
                                        ; -- End function
	.set _Z25findCellBoundsAndReorderKPjS_P15HIP_vector_typeIfLj4EES2_PKjS4_PKS1_S6_j.num_vgpr, 10
	.set _Z25findCellBoundsAndReorderKPjS_P15HIP_vector_typeIfLj4EES2_PKjS4_PKS1_S6_j.num_agpr, 0
	.set _Z25findCellBoundsAndReorderKPjS_P15HIP_vector_typeIfLj4EES2_PKjS4_PKS1_S6_j.numbered_sgpr, 18
	.set _Z25findCellBoundsAndReorderKPjS_P15HIP_vector_typeIfLj4EES2_PKjS4_PKS1_S6_j.num_named_barrier, 0
	.set _Z25findCellBoundsAndReorderKPjS_P15HIP_vector_typeIfLj4EES2_PKjS4_PKS1_S6_j.private_seg_size, 0
	.set _Z25findCellBoundsAndReorderKPjS_P15HIP_vector_typeIfLj4EES2_PKjS4_PKS1_S6_j.uses_vcc, 1
	.set _Z25findCellBoundsAndReorderKPjS_P15HIP_vector_typeIfLj4EES2_PKjS4_PKS1_S6_j.uses_flat_scratch, 0
	.set _Z25findCellBoundsAndReorderKPjS_P15HIP_vector_typeIfLj4EES2_PKjS4_PKS1_S6_j.has_dyn_sized_stack, 0
	.set _Z25findCellBoundsAndReorderKPjS_P15HIP_vector_typeIfLj4EES2_PKjS4_PKS1_S6_j.has_recursion, 0
	.set _Z25findCellBoundsAndReorderKPjS_P15HIP_vector_typeIfLj4EES2_PKjS4_PKS1_S6_j.has_indirect_call, 0
	.section	.AMDGPU.csdata,"",@progbits
; Kernel info:
; codeLenInByte = 528
; TotalNumSgprs: 20
; NumVgprs: 10
; ScratchSize: 0
; MemoryBound: 1
; FloatMode: 240
; IeeeMode: 1
; LDSByteSize: 0 bytes/workgroup (compile time only)
; SGPRBlocks: 0
; VGPRBlocks: 0
; NumSGPRsForWavesPerEU: 20
; NumVGPRsForWavesPerEU: 10
; NamedBarCnt: 0
; Occupancy: 16
; WaveLimiterHint : 1
; COMPUTE_PGM_RSRC2:SCRATCH_EN: 0
; COMPUTE_PGM_RSRC2:USER_SGPR: 2
; COMPUTE_PGM_RSRC2:TRAP_HANDLER: 0
; COMPUTE_PGM_RSRC2:TGID_X_EN: 1
; COMPUTE_PGM_RSRC2:TGID_Y_EN: 0
; COMPUTE_PGM_RSRC2:TGID_Z_EN: 0
; COMPUTE_PGM_RSRC2:TIDIG_COMP_CNT: 0
	.text
	.protected	_Z8collideKP15HIP_vector_typeIfLj4EEPKS0_S3_PKjS5_S5_11simParams_tj ; -- Begin function _Z8collideKP15HIP_vector_typeIfLj4EEPKS0_S3_PKjS5_S5_11simParams_tj
	.globl	_Z8collideKP15HIP_vector_typeIfLj4EEPKS0_S3_PKjS5_S5_11simParams_tj
	.p2align	8
	.type	_Z8collideKP15HIP_vector_typeIfLj4EEPKS0_S3_PKjS5_S5_11simParams_tj,@function
_Z8collideKP15HIP_vector_typeIfLj4EEPKS0_S3_PKjS5_S5_11simParams_tj: ; @_Z8collideKP15HIP_vector_typeIfLj4EEPKS0_S3_PKjS5_S5_11simParams_tj
; %bb.0:
	s_clause 0x1
	s_load_b32 s2, s[0:1], 0xac
	s_load_b32 s3, s[0:1], 0x98
	s_bfe_u32 s4, ttmp6, 0x4000c
	s_and_b32 s5, ttmp6, 15
	s_add_co_i32 s4, s4, 1
	s_getreg_b32 s6, hwreg(HW_REG_IB_STS2, 6, 4)
	s_mul_i32 s4, ttmp9, s4
	s_delay_alu instid0(SALU_CYCLE_1) | instskip(SKIP_4) | instid1(SALU_CYCLE_1)
	s_add_co_i32 s5, s5, s4
	s_wait_kmcnt 0x0
	s_and_b32 s2, s2, 0xffff
	s_cmp_eq_u32 s6, 0
	s_cselect_b32 s4, ttmp9, s5
	v_mad_u32 v20, s4, s2, v0
	s_mov_b32 s2, exec_lo
	s_delay_alu instid0(VALU_DEP_1)
	v_cmpx_gt_u32_e64 s3, v20
	s_cbranch_execz .LBB4_96
; %bb.1:
	s_load_b256 s[4:11], s[0:1], 0x0
	v_mov_b32_e32 v9, 0
	s_mov_b32 s33, -1
	s_delay_alu instid0(VALU_DEP_1) | instskip(SKIP_1) | instid1(VALU_DEP_1)
	v_mov_b32_e32 v21, v9
	s_wait_kmcnt 0x0
	v_lshl_add_u64 v[4:5], v[20:21], 4, s[6:7]
	s_add_nc_u64 s[6:7], s[6:7], 4
	global_load_b96 v[16:18], v[4:5], off
	global_load_b128 v[0:3], v20, s[8:9] scale_offset
	s_clause 0x5
	s_load_b128 s[24:27], s[0:1], 0x64
	s_load_b96 s[28:30], s[0:1], 0x88
	s_load_b64 s[36:37], s[0:1], 0x74
	s_load_b128 s[20:23], s[0:1], 0x50
	s_load_b32 s31, s[0:1], 0x84
	s_load_b256 s[12:19], s[0:1], 0x20
	s_add_nc_u64 s[8:9], s[8:9], 4
	s_wait_kmcnt 0x0
	s_mov_b32 s2, s29
	s_mov_b32 s3, s30
	s_add_co_i32 s38, s21, -1
	s_add_co_i32 s39, s22, -1
	s_add_f32 s40, s20, s20
	s_add_co_i32 s23, s23, -1
	s_xor_b32 s34, s31, 0x80000000
	s_mov_b32 s35, s28
	s_mov_b32 s31, s28
	s_wait_loadcnt 0x1
	v_dual_subrev_f32 v4, s24, v16 :: v_dual_subrev_f32 v5, s25, v17
	v_dual_subrev_f32 v7, s26, v18 :: v_dual_mov_b32 v8, v9
	v_dual_mov_b32 v10, v9 :: v_dual_mov_b32 v11, v9
	s_delay_alu instid0(VALU_DEP_3) | instskip(NEXT) | instid1(VALU_DEP_4)
	v_div_scale_f32 v6, null, s27, s27, v4
	v_div_scale_f32 v12, null, s36, s36, v5
	s_delay_alu instid0(VALU_DEP_4) | instskip(NEXT) | instid1(VALU_DEP_3)
	v_div_scale_f32 v14, null, s37, s37, v7
	v_rcp_f32_e32 v13, v6
	s_delay_alu instid0(VALU_DEP_2) | instskip(SKIP_1) | instid1(VALU_DEP_2)
	v_rcp_f32_e32 v15, v12
	v_div_scale_f32 v23, vcc_lo, v4, s27, v4
	v_rcp_f32_e32 v19, v14
	v_div_scale_f32 v25, s0, v5, s36, v5
	s_delay_alu instid0(TRANS32_DEP_3) | instskip(NEXT) | instid1(TRANS32_DEP_2)
	v_fma_f32 v22, -v6, v13, 1.0
	v_fma_f32 v24, -v12, v15, 1.0
	s_mov_b32 s24, s30
	s_mov_b32 s25, s30
	;; [unrolled: 1-line block ×3, first 2 shown]
	s_delay_alu instid0(VALU_DEP_1) | instskip(SKIP_2) | instid1(VALU_DEP_3)
	v_dual_fmac_f32 v13, v22, v13 :: v_dual_fmac_f32 v15, v24, v15
	v_fma_f32 v22, -v14, v19, 1.0
	v_div_scale_f32 v24, s1, v7, s37, v7
	v_mul_f32_e32 v26, v23, v13
	s_mov_b32 s26, s29
	s_delay_alu instid0(VALU_DEP_3) | instskip(NEXT) | instid1(VALU_DEP_2)
	v_fmac_f32_e32 v19, v22, v19
	v_dual_mul_f32 v22, v25, v15 :: v_dual_fma_f32 v27, -v6, v26, v23
	s_delay_alu instid0(VALU_DEP_2) | instskip(NEXT) | instid1(VALU_DEP_2)
	v_mul_f32_e32 v28, v24, v19
	v_dual_fma_f32 v29, -v12, v22, v25 :: v_dual_fmac_f32 v26, v27, v13
	s_delay_alu instid0(VALU_DEP_1) | instskip(NEXT) | instid1(VALU_DEP_2)
	v_dual_fma_f32 v27, -v14, v28, v24 :: v_dual_fmac_f32 v22, v29, v15
	v_fma_f32 v6, -v6, v26, v23
	s_wait_loadcnt 0x0
	s_delay_alu instid0(VALU_DEP_2) | instskip(NEXT) | instid1(VALU_DEP_3)
	v_dual_mov_b32 v23, v2 :: v_dual_fmac_f32 v28, v27, v19
	v_dual_fma_f32 v12, -v12, v22, v25 :: v_dual_mov_b32 v25, v18
	s_delay_alu instid0(VALU_DEP_3) | instskip(SKIP_1) | instid1(VALU_DEP_3)
	v_div_fmas_f32 v6, v6, v13, v26
	s_mov_b32 vcc_lo, s0
	v_fma_f32 v13, -v14, v28, v24
	s_delay_alu instid0(VALU_DEP_3)
	v_div_fmas_f32 v12, v12, v15, v22
	s_mov_b32 vcc_lo, s1
	v_div_fixup_f32 v4, v6, s27, v4
	v_mov_b32_e32 v24, v17
	v_div_fmas_f32 v6, v13, v19, v28
	v_div_fixup_f32 v5, v12, s36, v5
	v_mov_b32_e32 v19, v0
	v_floor_f32_e32 v4, v4
	v_mov_b32_e32 v22, v1
	v_div_fixup_f32 v6, v6, s37, v7
	v_floor_f32_e32 v5, v5
	s_mov_b32 s27, s29
	v_cvt_i32_f32_e32 v12, v4
	s_delay_alu instid0(VALU_DEP_3) | instskip(NEXT) | instid1(VALU_DEP_3)
	v_floor_f32_e32 v4, v6
	v_cvt_i32_f32_e32 v13, v5
	s_delay_alu instid0(VALU_DEP_3) | instskip(NEXT) | instid1(VALU_DEP_3)
	v_add_nc_u32_e32 v5, -1, v12
	v_cvt_i32_f32_e32 v14, v4
	s_delay_alu instid0(VALU_DEP_3) | instskip(NEXT) | instid1(VALU_DEP_3)
	v_add_nc_u32_e32 v6, -1, v13
	v_and_b32_e32 v15, s38, v5
	s_delay_alu instid0(VALU_DEP_2)
	v_and_b32_e32 v17, s39, v6
	v_mov_b64_e32 v[4:5], v[8:9]
	v_mov_b64_e32 v[6:7], v[10:11]
	s_branch .LBB4_5
.LBB4_2:                                ;   in Loop: Header=BB4_5 Depth=1
	s_or_b32 exec_lo, exec_lo, s37
.LBB4_3:                                ;   in Loop: Header=BB4_5 Depth=1
	s_delay_alu instid0(SALU_CYCLE_1)
	s_or_b32 exec_lo, exec_lo, s36
.LBB4_4:                                ;   in Loop: Header=BB4_5 Depth=1
	s_delay_alu instid0(SALU_CYCLE_1) | instskip(SKIP_1) | instid1(SALU_CYCLE_1)
	s_or_b32 exec_lo, exec_lo, s29
	s_add_co_i32 s33, s33, 1
	s_cmp_eq_u32 s33, 2
	s_cbranch_scc1 .LBB4_93
.LBB4_5:                                ; =>This Loop Header: Depth=1
                                        ;     Child Loop BB4_10 Depth 2
                                        ;     Child Loop BB4_20 Depth 2
	;; [unrolled: 1-line block ×9, first 2 shown]
	v_add_nc_u32_e32 v8, s33, v14
	s_mov_b32 s29, exec_lo
	s_delay_alu instid0(VALU_DEP_1) | instskip(NEXT) | instid1(VALU_DEP_1)
	v_and_b32_e32 v36, s23, v8
	v_mad_u32 v39, v36, s22, v17
	s_delay_alu instid0(VALU_DEP_1)
	v_mad_u32 v8, v39, s21, v15
	global_load_b32 v10, v8, s[12:13] scale_offset
	s_wait_loadcnt 0x0
	v_cmpx_ne_u32_e32 -1, v10
	s_cbranch_execz .LBB4_15
; %bb.6:                                ;   in Loop: Header=BB4_5 Depth=1
	v_lshl_add_u64 v[26:27], v[8:9], 2, s[14:15]
	s_mov_b32 s36, exec_lo
	global_load_b32 v37, v[26:27], off
	s_wait_loadcnt 0x0
	v_cmpx_lt_u32_e64 v10, v37
	s_cbranch_execz .LBB4_14
; %bb.7:                                ;   in Loop: Header=BB4_5 Depth=1
	v_mov_b32_e32 v11, v9
	s_mov_b32 s37, 0
	s_delay_alu instid0(VALU_DEP_1) | instskip(NEXT) | instid1(VALU_DEP_1)
	v_lshlrev_b64_e32 v[28:29], 4, v[10:11]
	v_add_nc_u64_e32 v[26:27], s[6:7], v[28:29]
	v_add_nc_u64_e32 v[28:29], s[8:9], v[28:29]
	s_branch .LBB4_10
.LBB4_8:                                ;   in Loop: Header=BB4_10 Depth=2
	s_or_b32 exec_lo, exec_lo, s42
	s_delay_alu instid0(VALU_DEP_2) | instskip(NEXT) | instid1(VALU_DEP_2)
	v_pk_add_f32 v[6:7], v[6:7], v[8:9]
	v_pk_add_f32 v[4:5], v[4:5], v[34:35]
.LBB4_9:                                ;   in Loop: Header=BB4_10 Depth=2
	s_or_b32 exec_lo, exec_lo, s41
	v_add_nc_u32_e32 v10, 1, v10
	v_add_nc_u64_e32 v[26:27], 16, v[26:27]
	v_add_nc_u64_e32 v[28:29], 16, v[28:29]
	s_delay_alu instid0(VALU_DEP_3) | instskip(SKIP_1) | instid1(SALU_CYCLE_1)
	v_cmp_ge_u32_e32 vcc_lo, v10, v37
	s_or_b32 s37, vcc_lo, s37
	s_and_not1_b32 exec_lo, exec_lo, s37
	s_cbranch_execz .LBB4_13
.LBB4_10:                               ;   Parent Loop BB4_5 Depth=1
                                        ; =>  This Inner Loop Header: Depth=2
	s_mov_b32 s41, exec_lo
	v_cmpx_ne_u32_e64 v20, v10
	s_cbranch_execz .LBB4_9
; %bb.11:                               ;   in Loop: Header=BB4_10 Depth=2
	global_load_b96 v[32:34], v[26:27], off offset:-4
	s_mov_b32 s42, exec_lo
	s_wait_loadcnt 0x0
	v_dual_mov_b32 v30, v33 :: v_dual_mov_b32 v31, v34
	v_sub_f32_e32 v33, v32, v16
	s_delay_alu instid0(VALU_DEP_2) | instskip(NEXT) | instid1(VALU_DEP_1)
	v_pk_add_f32 v[30:31], v[30:31], v[24:25] neg_lo:[0,1] neg_hi:[0,1]
	v_pk_mul_f32 v[34:35], v[30:31], v[30:31]
	s_delay_alu instid0(VALU_DEP_1) | instskip(NEXT) | instid1(VALU_DEP_1)
	v_fma_f32 v8, v33, v33, v34
	v_add_f32_e32 v8, v35, v8
	s_delay_alu instid0(VALU_DEP_1) | instskip(SKIP_1) | instid1(VALU_DEP_2)
	v_mul_f32_e32 v11, 0x4f800000, v8
	v_cmp_gt_f32_e32 vcc_lo, 0xf800000, v8
	v_cndmask_b32_e32 v8, v8, v11, vcc_lo
	s_delay_alu instid0(VALU_DEP_1) | instskip(SKIP_1) | instid1(TRANS32_DEP_1)
	v_sqrt_f32_e32 v11, v8
	v_nop
	v_dual_add_nc_u32 v18, -1, v11 :: v_dual_add_nc_u32 v32, 1, v11
	s_delay_alu instid0(VALU_DEP_1) | instskip(NEXT) | instid1(VALU_DEP_1)
	v_dual_fma_f32 v34, -v18, v11, v8 :: v_dual_fma_f32 v35, -v32, v11, v8
	v_cmp_ge_f32_e64 s0, 0, v34
	s_delay_alu instid0(VALU_DEP_1) | instskip(NEXT) | instid1(VALU_DEP_3)
	v_dual_mov_b32 v34, 0 :: v_dual_cndmask_b32 v11, v11, v18, s0
	v_cmp_lt_f32_e64 s0, 0, v35
	s_delay_alu instid0(VALU_DEP_1) | instskip(NEXT) | instid1(VALU_DEP_1)
	v_dual_mov_b32 v35, 0 :: v_dual_cndmask_b32 v11, v11, v32, s0
	v_mul_f32_e32 v18, 0x37800000, v11
	s_delay_alu instid0(VALU_DEP_1) | instskip(SKIP_1) | instid1(VALU_DEP_1)
	v_cndmask_b32_e32 v11, v11, v18, vcc_lo
	v_cmp_class_f32_e64 vcc_lo, v8, 0x260
	v_dual_cndmask_b32 v18, v11, v8, vcc_lo :: v_dual_mov_b32 v8, 0
	s_delay_alu instid0(VALU_DEP_1)
	v_cmpx_gt_f32_e32 s40, v18
	s_cbranch_execz .LBB4_8
; %bb.12:                               ;   in Loop: Header=BB4_10 Depth=2
	global_load_b96 v[40:42], v[28:29], off offset:-4
	v_div_scale_f32 v8, null, v18, v18, v33
	v_div_scale_f32 v11, null, v18, v18, v31
	;; [unrolled: 1-line block ×3, first 2 shown]
	s_delay_alu instid0(VALU_DEP_3) | instskip(NEXT) | instid1(VALU_DEP_2)
	v_rcp_f32_e32 v34, v8
	v_rcp_f32_e32 v35, v11
	v_div_scale_f32 v44, s0, v31, v18, v31
	s_delay_alu instid0(VALU_DEP_2) | instskip(SKIP_1) | instid1(TRANS32_DEP_3)
	v_rcp_f32_e32 v38, v32
	v_div_scale_f32 v43, vcc_lo, v33, v18, v33
	v_fma_f32 v45, -v8, v34, 1.0
	s_delay_alu instid0(TRANS32_DEP_2) | instskip(SKIP_1) | instid1(TRANS32_DEP_1)
	v_fma_f32 v46, -v11, v35, 1.0
	v_div_scale_f32 v48, s1, v30, v18, v30
	v_fma_f32 v47, -v32, v38, 1.0
	s_delay_alu instid0(VALU_DEP_3) | instskip(NEXT) | instid1(VALU_DEP_1)
	v_dual_fmac_f32 v34, v45, v34 :: v_dual_fmac_f32 v35, v46, v35
	v_dual_fmac_f32 v38, v47, v38 :: v_dual_mul_f32 v46, v44, v35
	s_delay_alu instid0(VALU_DEP_1) | instskip(NEXT) | instid1(VALU_DEP_1)
	v_fma_f32 v50, -v11, v46, v44
	v_dual_mul_f32 v47, v48, v38 :: v_dual_fmac_f32 v46, v50, v35
	s_delay_alu instid0(VALU_DEP_1) | instskip(NEXT) | instid1(VALU_DEP_1)
	v_dual_mul_f32 v45, v43, v34 :: v_dual_fma_f32 v51, -v32, v47, v48
	v_dual_fma_f32 v11, -v11, v46, v44 :: v_dual_fma_f32 v49, -v8, v45, v43
	s_delay_alu instid0(VALU_DEP_2) | instskip(SKIP_1) | instid1(VALU_DEP_2)
	v_fmac_f32_e32 v47, v51, v38
	v_mov_b64_e32 v[50:51], s[26:27]
	v_dual_fmac_f32 v45, v49, v34 :: v_dual_fma_f32 v32, -v32, v47, v48
	v_mov_b64_e32 v[48:49], s[30:31]
	s_delay_alu instid0(VALU_DEP_2) | instskip(NEXT) | instid1(VALU_DEP_1)
	v_fma_f32 v8, -v8, v45, v43
	v_div_fmas_f32 v8, v8, v34, v45
	s_mov_b32 vcc_lo, s0
	v_div_fmas_f32 v11, v11, v35, v46
	s_mov_b32 vcc_lo, s1
	s_delay_alu instid0(VALU_DEP_1)
	v_div_fixup_f32 v45, v11, v18, v31
	v_div_fixup_f32 v11, v8, v18, v33
	s_wait_loadcnt 0x0
	v_mov_b32_e32 v34, v41
	v_div_fmas_f32 v32, v32, v38, v47
	v_dual_mov_b32 v35, v42 :: v_dual_mov_b32 v42, s40
	v_mov_b32_e32 v43, v40
	v_mov_b64_e32 v[46:47], s[34:35]
	s_delay_alu instid0(VALU_DEP_4) | instskip(NEXT) | instid1(VALU_DEP_4)
	v_div_fixup_f32 v44, v32, v18, v30
	v_pk_add_f32 v[34:35], v[34:35], v[22:23] neg_lo:[0,1] neg_hi:[0,1]
	s_delay_alu instid0(VALU_DEP_4) | instskip(NEXT) | instid1(VALU_DEP_2)
	v_pk_add_f32 v[40:41], v[42:43], v[18:19] neg_lo:[0,1] neg_hi:[0,1]
	v_pk_mul_f32 v[42:43], v[44:45], v[34:35]
	v_pk_mul_f32 v[48:49], v[48:49], v[34:35]
	s_delay_alu instid0(VALU_DEP_3) | instskip(NEXT) | instid1(VALU_DEP_3)
	v_pk_mul_f32 v[46:47], v[40:41], v[46:47]
	v_fma_f32 v8, v11, v41, v42
	s_delay_alu instid0(VALU_DEP_2) | instskip(NEXT) | instid1(VALU_DEP_2)
	v_pk_fma_f32 v[48:49], v[44:45], v[46:47], v[48:49] op_sel_hi:[1,0,1]
	v_add_f32_e32 v8, v43, v8
	v_mov_b64_e32 v[42:43], s[2:3]
	s_delay_alu instid0(VALU_DEP_2) | instskip(SKIP_3) | instid1(VALU_DEP_4)
	v_fma_f32 v32, -v11, v8, v41
	v_pk_fma_f32 v[34:35], v[44:45], v[8:9], v[34:35] op_sel_hi:[1,0,1] neg_lo:[1,0,0] neg_hi:[1,0,0]
	v_mov_b64_e32 v[40:41], s[24:25]
	v_fma_f32 v8, v11, v46, v47
	v_pk_mul_f32 v[32:33], v[42:43], v[32:33]
	s_delay_alu instid0(VALU_DEP_4) | instskip(NEXT) | instid1(VALU_DEP_2)
	v_pk_fma_f32 v[34:35], v[50:51], v[34:35], v[48:49]
	v_add_f32_e32 v8, v8, v32
	s_delay_alu instid0(VALU_DEP_2) | instskip(NEXT) | instid1(VALU_DEP_1)
	v_pk_fma_f32 v[30:31], v[40:41], v[30:31], v[34:35]
	v_dual_add_f32 v34, v33, v8 :: v_dual_mov_b32 v8, v31
	s_delay_alu instid0(VALU_DEP_2)
	v_mov_b32_e32 v35, v30
	s_branch .LBB4_8
.LBB4_13:                               ;   in Loop: Header=BB4_5 Depth=1
	s_or_b32 exec_lo, exec_lo, s37
.LBB4_14:                               ;   in Loop: Header=BB4_5 Depth=1
	s_delay_alu instid0(SALU_CYCLE_1)
	s_or_b32 exec_lo, exec_lo, s36
.LBB4_15:                               ;   in Loop: Header=BB4_5 Depth=1
	s_delay_alu instid0(SALU_CYCLE_1) | instskip(SKIP_2) | instid1(VALU_DEP_1)
	s_or_b32 exec_lo, exec_lo, s29
	v_and_b32_e32 v37, s38, v12
	s_mov_b32 s29, exec_lo
	v_mad_u32 v8, v39, s21, v37
	global_load_b32 v10, v8, s[12:13] scale_offset
	s_wait_loadcnt 0x0
	v_cmpx_ne_u32_e32 -1, v10
	s_cbranch_execz .LBB4_25
; %bb.16:                               ;   in Loop: Header=BB4_5 Depth=1
	v_lshl_add_u64 v[26:27], v[8:9], 2, s[14:15]
	s_mov_b32 s36, exec_lo
	global_load_b32 v38, v[26:27], off
	s_wait_loadcnt 0x0
	v_cmpx_lt_u32_e64 v10, v38
	s_cbranch_execz .LBB4_24
; %bb.17:                               ;   in Loop: Header=BB4_5 Depth=1
	v_mov_b32_e32 v11, v9
	s_mov_b32 s37, 0
	s_delay_alu instid0(VALU_DEP_1) | instskip(NEXT) | instid1(VALU_DEP_1)
	v_lshlrev_b64_e32 v[28:29], 4, v[10:11]
	v_add_nc_u64_e32 v[26:27], s[8:9], v[28:29]
	v_add_nc_u64_e32 v[28:29], s[6:7], v[28:29]
	s_branch .LBB4_20
.LBB4_18:                               ;   in Loop: Header=BB4_20 Depth=2
	s_or_b32 exec_lo, exec_lo, s42
	s_delay_alu instid0(VALU_DEP_2) | instskip(NEXT) | instid1(VALU_DEP_2)
	v_pk_add_f32 v[6:7], v[6:7], v[8:9]
	v_pk_add_f32 v[4:5], v[4:5], v[34:35]
.LBB4_19:                               ;   in Loop: Header=BB4_20 Depth=2
	s_or_b32 exec_lo, exec_lo, s41
	v_add_nc_u32_e32 v10, 1, v10
	v_add_nc_u64_e32 v[26:27], 16, v[26:27]
	v_add_nc_u64_e32 v[28:29], 16, v[28:29]
	s_delay_alu instid0(VALU_DEP_3) | instskip(SKIP_1) | instid1(SALU_CYCLE_1)
	v_cmp_ge_u32_e32 vcc_lo, v10, v38
	s_or_b32 s37, vcc_lo, s37
	s_and_not1_b32 exec_lo, exec_lo, s37
	s_cbranch_execz .LBB4_23
.LBB4_20:                               ;   Parent Loop BB4_5 Depth=1
                                        ; =>  This Inner Loop Header: Depth=2
	s_mov_b32 s41, exec_lo
	v_cmpx_ne_u32_e64 v20, v10
	s_cbranch_execz .LBB4_19
; %bb.21:                               ;   in Loop: Header=BB4_20 Depth=2
	global_load_b96 v[32:34], v[28:29], off offset:-4
	s_mov_b32 s42, exec_lo
	s_wait_loadcnt 0x0
	v_dual_mov_b32 v30, v33 :: v_dual_mov_b32 v31, v34
	v_sub_f32_e32 v33, v32, v16
	s_delay_alu instid0(VALU_DEP_2) | instskip(NEXT) | instid1(VALU_DEP_1)
	v_pk_add_f32 v[30:31], v[30:31], v[24:25] neg_lo:[0,1] neg_hi:[0,1]
	v_pk_mul_f32 v[34:35], v[30:31], v[30:31]
	s_delay_alu instid0(VALU_DEP_1) | instskip(NEXT) | instid1(VALU_DEP_1)
	v_fma_f32 v8, v33, v33, v34
	v_add_f32_e32 v8, v35, v8
	s_delay_alu instid0(VALU_DEP_1) | instskip(SKIP_1) | instid1(VALU_DEP_2)
	v_mul_f32_e32 v11, 0x4f800000, v8
	v_cmp_gt_f32_e32 vcc_lo, 0xf800000, v8
	v_cndmask_b32_e32 v8, v8, v11, vcc_lo
	s_delay_alu instid0(VALU_DEP_1) | instskip(SKIP_1) | instid1(TRANS32_DEP_1)
	v_sqrt_f32_e32 v11, v8
	v_nop
	v_dual_add_nc_u32 v18, -1, v11 :: v_dual_add_nc_u32 v32, 1, v11
	s_delay_alu instid0(VALU_DEP_1) | instskip(NEXT) | instid1(VALU_DEP_1)
	v_dual_fma_f32 v34, -v18, v11, v8 :: v_dual_fma_f32 v35, -v32, v11, v8
	v_cmp_ge_f32_e64 s0, 0, v34
	s_delay_alu instid0(VALU_DEP_1) | instskip(NEXT) | instid1(VALU_DEP_3)
	v_dual_mov_b32 v34, 0 :: v_dual_cndmask_b32 v11, v11, v18, s0
	v_cmp_lt_f32_e64 s0, 0, v35
	s_delay_alu instid0(VALU_DEP_1) | instskip(NEXT) | instid1(VALU_DEP_1)
	v_dual_mov_b32 v35, 0 :: v_dual_cndmask_b32 v11, v11, v32, s0
	v_mul_f32_e32 v18, 0x37800000, v11
	s_delay_alu instid0(VALU_DEP_1) | instskip(SKIP_1) | instid1(VALU_DEP_1)
	v_cndmask_b32_e32 v11, v11, v18, vcc_lo
	v_cmp_class_f32_e64 vcc_lo, v8, 0x260
	v_dual_cndmask_b32 v18, v11, v8, vcc_lo :: v_dual_mov_b32 v8, 0
	s_delay_alu instid0(VALU_DEP_1)
	v_cmpx_gt_f32_e32 s40, v18
	s_cbranch_execz .LBB4_18
; %bb.22:                               ;   in Loop: Header=BB4_20 Depth=2
	global_load_b96 v[40:42], v[26:27], off offset:-4
	v_div_scale_f32 v8, null, v18, v18, v33
	v_div_scale_f32 v11, null, v18, v18, v31
	;; [unrolled: 1-line block ×3, first 2 shown]
	s_delay_alu instid0(VALU_DEP_3) | instskip(NEXT) | instid1(VALU_DEP_2)
	v_rcp_f32_e32 v34, v8
	v_rcp_f32_e32 v35, v11
	v_div_scale_f32 v44, vcc_lo, v33, v18, v33
	s_delay_alu instid0(VALU_DEP_2) | instskip(SKIP_1) | instid1(TRANS32_DEP_3)
	v_rcp_f32_e32 v43, v32
	v_div_scale_f32 v45, s0, v31, v18, v31
	v_fma_f32 v46, -v8, v34, 1.0
	s_delay_alu instid0(TRANS32_DEP_2) | instskip(SKIP_1) | instid1(TRANS32_DEP_1)
	v_fma_f32 v47, -v11, v35, 1.0
	v_div_scale_f32 v49, s1, v30, v18, v30
	v_fma_f32 v48, -v32, v43, 1.0
	s_delay_alu instid0(VALU_DEP_3) | instskip(NEXT) | instid1(VALU_DEP_1)
	v_dual_fmac_f32 v34, v46, v34 :: v_dual_fmac_f32 v35, v47, v35
	v_dual_mul_f32 v46, v44, v34 :: v_dual_mul_f32 v47, v45, v35
	s_delay_alu instid0(VALU_DEP_1) | instskip(NEXT) | instid1(VALU_DEP_1)
	v_dual_fma_f32 v50, -v8, v46, v44 :: v_dual_fma_f32 v51, -v11, v47, v45
	v_dual_fmac_f32 v43, v48, v43 :: v_dual_fmac_f32 v46, v50, v34
	s_delay_alu instid0(VALU_DEP_2) | instskip(NEXT) | instid1(VALU_DEP_2)
	v_fmac_f32_e32 v47, v51, v35
	v_mul_f32_e32 v48, v49, v43
	v_mov_b64_e32 v[50:51], s[26:27]
	s_delay_alu instid0(VALU_DEP_3) | instskip(NEXT) | instid1(VALU_DEP_3)
	v_dual_fma_f32 v8, -v8, v46, v44 :: v_dual_fma_f32 v11, -v11, v47, v45
	v_fma_f32 v52, -v32, v48, v49
	s_delay_alu instid0(VALU_DEP_2) | instskip(SKIP_1) | instid1(VALU_DEP_2)
	v_div_fmas_f32 v8, v8, v34, v46
	s_mov_b32 vcc_lo, s0
	v_fmac_f32_e32 v48, v52, v43
	v_div_fmas_f32 v11, v11, v35, v47
	s_mov_b32 vcc_lo, s1
	v_mov_b64_e32 v[46:47], s[34:35]
	s_delay_alu instid0(VALU_DEP_2) | instskip(SKIP_4) | instid1(VALU_DEP_2)
	v_div_fixup_f32 v45, v11, v18, v31
	v_div_fixup_f32 v11, v8, v18, v33
	s_wait_loadcnt 0x0
	v_dual_mov_b32 v34, v41 :: v_dual_fma_f32 v32, -v32, v48, v49
	v_dual_mov_b32 v35, v42 :: v_dual_mov_b32 v42, s40
	v_div_fmas_f32 v32, v32, v43, v48
	v_mov_b32_e32 v43, v40
	s_delay_alu instid0(VALU_DEP_3) | instskip(SKIP_1) | instid1(VALU_DEP_4)
	v_pk_add_f32 v[34:35], v[34:35], v[22:23] neg_lo:[0,1] neg_hi:[0,1]
	v_mov_b64_e32 v[48:49], s[30:31]
	v_div_fixup_f32 v44, v32, v18, v30
	s_delay_alu instid0(VALU_DEP_4) | instskip(NEXT) | instid1(VALU_DEP_3)
	v_pk_add_f32 v[40:41], v[42:43], v[18:19] neg_lo:[0,1] neg_hi:[0,1]
	v_pk_mul_f32 v[48:49], v[48:49], v[34:35]
	s_delay_alu instid0(VALU_DEP_3) | instskip(NEXT) | instid1(VALU_DEP_3)
	v_pk_mul_f32 v[42:43], v[44:45], v[34:35]
	v_pk_mul_f32 v[46:47], v[40:41], v[46:47]
	s_delay_alu instid0(VALU_DEP_2) | instskip(NEXT) | instid1(VALU_DEP_2)
	v_fma_f32 v8, v11, v41, v42
	v_pk_fma_f32 v[48:49], v[44:45], v[46:47], v[48:49] op_sel_hi:[1,0,1]
	s_delay_alu instid0(VALU_DEP_2) | instskip(SKIP_1) | instid1(VALU_DEP_2)
	v_add_f32_e32 v8, v43, v8
	v_mov_b64_e32 v[42:43], s[2:3]
	v_fma_f32 v32, -v11, v8, v41
	v_pk_fma_f32 v[34:35], v[44:45], v[8:9], v[34:35] op_sel_hi:[1,0,1] neg_lo:[1,0,0] neg_hi:[1,0,0]
	v_mov_b64_e32 v[40:41], s[24:25]
	v_fma_f32 v8, v11, v46, v47
	s_delay_alu instid0(VALU_DEP_4) | instskip(NEXT) | instid1(VALU_DEP_4)
	v_pk_mul_f32 v[32:33], v[42:43], v[32:33]
	v_pk_fma_f32 v[34:35], v[50:51], v[34:35], v[48:49]
	s_delay_alu instid0(VALU_DEP_2) | instskip(NEXT) | instid1(VALU_DEP_2)
	v_add_f32_e32 v8, v8, v32
	v_pk_fma_f32 v[30:31], v[40:41], v[30:31], v[34:35]
	s_delay_alu instid0(VALU_DEP_1) | instskip(NEXT) | instid1(VALU_DEP_2)
	v_dual_add_f32 v34, v33, v8 :: v_dual_mov_b32 v8, v31
	v_mov_b32_e32 v35, v30
	s_branch .LBB4_18
.LBB4_23:                               ;   in Loop: Header=BB4_5 Depth=1
	s_or_b32 exec_lo, exec_lo, s37
.LBB4_24:                               ;   in Loop: Header=BB4_5 Depth=1
	s_delay_alu instid0(SALU_CYCLE_1)
	s_or_b32 exec_lo, exec_lo, s36
.LBB4_25:                               ;   in Loop: Header=BB4_5 Depth=1
	s_delay_alu instid0(SALU_CYCLE_1) | instskip(SKIP_2) | instid1(VALU_DEP_1)
	s_or_b32 exec_lo, exec_lo, s29
	v_add_nc_u32_e32 v8, 1, v12
	s_mov_b32 s29, exec_lo
	v_and_b32_e32 v38, s38, v8
	s_delay_alu instid0(VALU_DEP_1)
	v_mad_u32 v8, v39, s21, v38
	global_load_b32 v10, v8, s[12:13] scale_offset
	s_wait_loadcnt 0x0
	v_cmpx_ne_u32_e32 -1, v10
	s_cbranch_execz .LBB4_35
; %bb.26:                               ;   in Loop: Header=BB4_5 Depth=1
	v_lshl_add_u64 v[26:27], v[8:9], 2, s[14:15]
	s_mov_b32 s36, exec_lo
	global_load_b32 v39, v[26:27], off
	s_wait_loadcnt 0x0
	v_cmpx_lt_u32_e64 v10, v39
	s_cbranch_execz .LBB4_34
; %bb.27:                               ;   in Loop: Header=BB4_5 Depth=1
	v_mov_b32_e32 v11, v9
	s_mov_b32 s37, 0
	s_delay_alu instid0(VALU_DEP_1) | instskip(NEXT) | instid1(VALU_DEP_1)
	v_lshlrev_b64_e32 v[28:29], 4, v[10:11]
	v_add_nc_u64_e32 v[26:27], s[8:9], v[28:29]
	v_add_nc_u64_e32 v[28:29], s[6:7], v[28:29]
	s_branch .LBB4_30
.LBB4_28:                               ;   in Loop: Header=BB4_30 Depth=2
	s_or_b32 exec_lo, exec_lo, s42
	s_delay_alu instid0(VALU_DEP_2) | instskip(NEXT) | instid1(VALU_DEP_2)
	v_pk_add_f32 v[6:7], v[6:7], v[8:9]
	v_pk_add_f32 v[4:5], v[4:5], v[34:35]
.LBB4_29:                               ;   in Loop: Header=BB4_30 Depth=2
	s_or_b32 exec_lo, exec_lo, s41
	v_add_nc_u32_e32 v10, 1, v10
	v_add_nc_u64_e32 v[26:27], 16, v[26:27]
	v_add_nc_u64_e32 v[28:29], 16, v[28:29]
	s_delay_alu instid0(VALU_DEP_3) | instskip(SKIP_1) | instid1(SALU_CYCLE_1)
	v_cmp_ge_u32_e32 vcc_lo, v10, v39
	s_or_b32 s37, vcc_lo, s37
	s_and_not1_b32 exec_lo, exec_lo, s37
	s_cbranch_execz .LBB4_33
.LBB4_30:                               ;   Parent Loop BB4_5 Depth=1
                                        ; =>  This Inner Loop Header: Depth=2
	s_mov_b32 s41, exec_lo
	v_cmpx_ne_u32_e64 v20, v10
	s_cbranch_execz .LBB4_29
; %bb.31:                               ;   in Loop: Header=BB4_30 Depth=2
	global_load_b96 v[32:34], v[28:29], off offset:-4
	s_mov_b32 s42, exec_lo
	s_wait_loadcnt 0x0
	v_dual_mov_b32 v30, v33 :: v_dual_mov_b32 v31, v34
	v_sub_f32_e32 v33, v32, v16
	s_delay_alu instid0(VALU_DEP_2) | instskip(NEXT) | instid1(VALU_DEP_1)
	v_pk_add_f32 v[30:31], v[30:31], v[24:25] neg_lo:[0,1] neg_hi:[0,1]
	v_pk_mul_f32 v[34:35], v[30:31], v[30:31]
	s_delay_alu instid0(VALU_DEP_1) | instskip(NEXT) | instid1(VALU_DEP_1)
	v_fma_f32 v8, v33, v33, v34
	v_add_f32_e32 v8, v35, v8
	s_delay_alu instid0(VALU_DEP_1) | instskip(SKIP_1) | instid1(VALU_DEP_2)
	v_mul_f32_e32 v11, 0x4f800000, v8
	v_cmp_gt_f32_e32 vcc_lo, 0xf800000, v8
	v_cndmask_b32_e32 v8, v8, v11, vcc_lo
	s_delay_alu instid0(VALU_DEP_1) | instskip(SKIP_1) | instid1(TRANS32_DEP_1)
	v_sqrt_f32_e32 v11, v8
	v_nop
	v_dual_add_nc_u32 v18, -1, v11 :: v_dual_add_nc_u32 v32, 1, v11
	s_delay_alu instid0(VALU_DEP_1) | instskip(NEXT) | instid1(VALU_DEP_1)
	v_dual_fma_f32 v34, -v18, v11, v8 :: v_dual_fma_f32 v35, -v32, v11, v8
	v_cmp_ge_f32_e64 s0, 0, v34
	s_delay_alu instid0(VALU_DEP_1) | instskip(NEXT) | instid1(VALU_DEP_3)
	v_dual_mov_b32 v34, 0 :: v_dual_cndmask_b32 v11, v11, v18, s0
	v_cmp_lt_f32_e64 s0, 0, v35
	s_delay_alu instid0(VALU_DEP_1) | instskip(NEXT) | instid1(VALU_DEP_1)
	v_dual_mov_b32 v35, 0 :: v_dual_cndmask_b32 v11, v11, v32, s0
	v_mul_f32_e32 v18, 0x37800000, v11
	s_delay_alu instid0(VALU_DEP_1) | instskip(SKIP_1) | instid1(VALU_DEP_1)
	v_cndmask_b32_e32 v11, v11, v18, vcc_lo
	v_cmp_class_f32_e64 vcc_lo, v8, 0x260
	v_dual_cndmask_b32 v18, v11, v8, vcc_lo :: v_dual_mov_b32 v8, 0
	s_delay_alu instid0(VALU_DEP_1)
	v_cmpx_gt_f32_e32 s40, v18
	s_cbranch_execz .LBB4_28
; %bb.32:                               ;   in Loop: Header=BB4_30 Depth=2
	global_load_b96 v[40:42], v[26:27], off offset:-4
	v_div_scale_f32 v8, null, v18, v18, v33
	v_div_scale_f32 v11, null, v18, v18, v31
	;; [unrolled: 1-line block ×3, first 2 shown]
	s_delay_alu instid0(VALU_DEP_3) | instskip(NEXT) | instid1(VALU_DEP_2)
	v_rcp_f32_e32 v34, v8
	v_rcp_f32_e32 v35, v11
	v_div_scale_f32 v44, vcc_lo, v33, v18, v33
	s_delay_alu instid0(VALU_DEP_2) | instskip(SKIP_1) | instid1(TRANS32_DEP_3)
	v_rcp_f32_e32 v43, v32
	v_div_scale_f32 v45, s0, v31, v18, v31
	v_fma_f32 v46, -v8, v34, 1.0
	s_delay_alu instid0(TRANS32_DEP_2) | instskip(SKIP_1) | instid1(TRANS32_DEP_1)
	v_fma_f32 v47, -v11, v35, 1.0
	v_div_scale_f32 v49, s1, v30, v18, v30
	v_fma_f32 v48, -v32, v43, 1.0
	s_delay_alu instid0(VALU_DEP_3) | instskip(NEXT) | instid1(VALU_DEP_1)
	v_dual_fmac_f32 v34, v46, v34 :: v_dual_fmac_f32 v35, v47, v35
	v_dual_mul_f32 v46, v44, v34 :: v_dual_mul_f32 v47, v45, v35
	s_delay_alu instid0(VALU_DEP_1) | instskip(NEXT) | instid1(VALU_DEP_1)
	v_dual_fma_f32 v50, -v8, v46, v44 :: v_dual_fma_f32 v51, -v11, v47, v45
	v_dual_fmac_f32 v43, v48, v43 :: v_dual_fmac_f32 v46, v50, v34
	s_delay_alu instid0(VALU_DEP_2) | instskip(NEXT) | instid1(VALU_DEP_2)
	v_fmac_f32_e32 v47, v51, v35
	v_mul_f32_e32 v48, v49, v43
	v_mov_b64_e32 v[50:51], s[26:27]
	s_delay_alu instid0(VALU_DEP_3) | instskip(NEXT) | instid1(VALU_DEP_3)
	v_dual_fma_f32 v8, -v8, v46, v44 :: v_dual_fma_f32 v11, -v11, v47, v45
	v_fma_f32 v52, -v32, v48, v49
	s_delay_alu instid0(VALU_DEP_2) | instskip(SKIP_1) | instid1(VALU_DEP_2)
	v_div_fmas_f32 v8, v8, v34, v46
	s_mov_b32 vcc_lo, s0
	v_fmac_f32_e32 v48, v52, v43
	v_div_fmas_f32 v11, v11, v35, v47
	s_mov_b32 vcc_lo, s1
	v_mov_b64_e32 v[46:47], s[34:35]
	s_delay_alu instid0(VALU_DEP_2) | instskip(SKIP_4) | instid1(VALU_DEP_2)
	v_div_fixup_f32 v45, v11, v18, v31
	v_div_fixup_f32 v11, v8, v18, v33
	s_wait_loadcnt 0x0
	v_dual_mov_b32 v34, v41 :: v_dual_fma_f32 v32, -v32, v48, v49
	v_dual_mov_b32 v35, v42 :: v_dual_mov_b32 v42, s40
	v_div_fmas_f32 v32, v32, v43, v48
	v_mov_b32_e32 v43, v40
	s_delay_alu instid0(VALU_DEP_3) | instskip(SKIP_1) | instid1(VALU_DEP_4)
	v_pk_add_f32 v[34:35], v[34:35], v[22:23] neg_lo:[0,1] neg_hi:[0,1]
	v_mov_b64_e32 v[48:49], s[30:31]
	v_div_fixup_f32 v44, v32, v18, v30
	s_delay_alu instid0(VALU_DEP_4) | instskip(NEXT) | instid1(VALU_DEP_3)
	v_pk_add_f32 v[40:41], v[42:43], v[18:19] neg_lo:[0,1] neg_hi:[0,1]
	v_pk_mul_f32 v[48:49], v[48:49], v[34:35]
	s_delay_alu instid0(VALU_DEP_3) | instskip(NEXT) | instid1(VALU_DEP_3)
	v_pk_mul_f32 v[42:43], v[44:45], v[34:35]
	v_pk_mul_f32 v[46:47], v[40:41], v[46:47]
	s_delay_alu instid0(VALU_DEP_2) | instskip(NEXT) | instid1(VALU_DEP_2)
	v_fma_f32 v8, v11, v41, v42
	v_pk_fma_f32 v[48:49], v[44:45], v[46:47], v[48:49] op_sel_hi:[1,0,1]
	s_delay_alu instid0(VALU_DEP_2) | instskip(SKIP_1) | instid1(VALU_DEP_2)
	v_add_f32_e32 v8, v43, v8
	v_mov_b64_e32 v[42:43], s[2:3]
	v_fma_f32 v32, -v11, v8, v41
	v_pk_fma_f32 v[34:35], v[44:45], v[8:9], v[34:35] op_sel_hi:[1,0,1] neg_lo:[1,0,0] neg_hi:[1,0,0]
	v_mov_b64_e32 v[40:41], s[24:25]
	v_fma_f32 v8, v11, v46, v47
	s_delay_alu instid0(VALU_DEP_4) | instskip(NEXT) | instid1(VALU_DEP_4)
	v_pk_mul_f32 v[32:33], v[42:43], v[32:33]
	v_pk_fma_f32 v[34:35], v[50:51], v[34:35], v[48:49]
	s_delay_alu instid0(VALU_DEP_2) | instskip(NEXT) | instid1(VALU_DEP_2)
	v_add_f32_e32 v8, v8, v32
	v_pk_fma_f32 v[30:31], v[40:41], v[30:31], v[34:35]
	s_delay_alu instid0(VALU_DEP_1) | instskip(NEXT) | instid1(VALU_DEP_2)
	v_dual_add_f32 v34, v33, v8 :: v_dual_mov_b32 v8, v31
	v_mov_b32_e32 v35, v30
	s_branch .LBB4_28
.LBB4_33:                               ;   in Loop: Header=BB4_5 Depth=1
	s_or_b32 exec_lo, exec_lo, s37
.LBB4_34:                               ;   in Loop: Header=BB4_5 Depth=1
	s_delay_alu instid0(SALU_CYCLE_1)
	s_or_b32 exec_lo, exec_lo, s36
.LBB4_35:                               ;   in Loop: Header=BB4_5 Depth=1
	s_delay_alu instid0(SALU_CYCLE_1) | instskip(SKIP_2) | instid1(VALU_DEP_1)
	s_or_b32 exec_lo, exec_lo, s29
	v_and_b32_e32 v8, s39, v13
	s_mov_b32 s29, exec_lo
	v_mad_u32 v39, v36, s22, v8
	s_delay_alu instid0(VALU_DEP_1)
	v_mad_u32 v8, v39, s21, v15
	global_load_b32 v10, v8, s[12:13] scale_offset
	s_wait_loadcnt 0x0
	v_cmpx_ne_u32_e32 -1, v10
	s_cbranch_execz .LBB4_45
; %bb.36:                               ;   in Loop: Header=BB4_5 Depth=1
	v_lshl_add_u64 v[26:27], v[8:9], 2, s[14:15]
	s_mov_b32 s36, exec_lo
	global_load_b32 v40, v[26:27], off
	s_wait_loadcnt 0x0
	v_cmpx_lt_u32_e64 v10, v40
	s_cbranch_execz .LBB4_44
; %bb.37:                               ;   in Loop: Header=BB4_5 Depth=1
	v_mov_b32_e32 v11, v9
	s_mov_b32 s37, 0
	s_delay_alu instid0(VALU_DEP_1) | instskip(NEXT) | instid1(VALU_DEP_1)
	v_lshlrev_b64_e32 v[28:29], 4, v[10:11]
	v_add_nc_u64_e32 v[26:27], s[8:9], v[28:29]
	v_add_nc_u64_e32 v[28:29], s[6:7], v[28:29]
	s_branch .LBB4_40
.LBB4_38:                               ;   in Loop: Header=BB4_40 Depth=2
	s_or_b32 exec_lo, exec_lo, s42
	s_delay_alu instid0(VALU_DEP_1)
	v_pk_add_f32 v[6:7], v[6:7], v[8:9]
	v_pk_add_f32 v[4:5], v[4:5], v[34:35]
.LBB4_39:                               ;   in Loop: Header=BB4_40 Depth=2
	s_or_b32 exec_lo, exec_lo, s41
	v_add_nc_u32_e32 v10, 1, v10
	v_add_nc_u64_e32 v[26:27], 16, v[26:27]
	v_add_nc_u64_e32 v[28:29], 16, v[28:29]
	s_delay_alu instid0(VALU_DEP_3) | instskip(SKIP_1) | instid1(SALU_CYCLE_1)
	v_cmp_ge_u32_e32 vcc_lo, v10, v40
	s_or_b32 s37, vcc_lo, s37
	s_and_not1_b32 exec_lo, exec_lo, s37
	s_cbranch_execz .LBB4_43
.LBB4_40:                               ;   Parent Loop BB4_5 Depth=1
                                        ; =>  This Inner Loop Header: Depth=2
	s_mov_b32 s41, exec_lo
	v_cmpx_ne_u32_e64 v20, v10
	s_cbranch_execz .LBB4_39
; %bb.41:                               ;   in Loop: Header=BB4_40 Depth=2
	global_load_b96 v[32:34], v[28:29], off offset:-4
	s_mov_b32 s42, exec_lo
	s_wait_loadcnt 0x0
	v_dual_mov_b32 v30, v33 :: v_dual_mov_b32 v31, v34
	v_sub_f32_e32 v33, v32, v16
	s_delay_alu instid0(VALU_DEP_2) | instskip(NEXT) | instid1(VALU_DEP_1)
	v_pk_add_f32 v[30:31], v[30:31], v[24:25] neg_lo:[0,1] neg_hi:[0,1]
	v_pk_mul_f32 v[34:35], v[30:31], v[30:31]
	s_delay_alu instid0(VALU_DEP_1) | instskip(NEXT) | instid1(VALU_DEP_1)
	v_fma_f32 v8, v33, v33, v34
	v_add_f32_e32 v8, v35, v8
	s_delay_alu instid0(VALU_DEP_1) | instskip(SKIP_1) | instid1(VALU_DEP_2)
	v_mul_f32_e32 v11, 0x4f800000, v8
	v_cmp_gt_f32_e32 vcc_lo, 0xf800000, v8
	v_cndmask_b32_e32 v8, v8, v11, vcc_lo
	s_delay_alu instid0(VALU_DEP_1) | instskip(SKIP_1) | instid1(TRANS32_DEP_1)
	v_sqrt_f32_e32 v11, v8
	v_nop
	v_dual_add_nc_u32 v18, -1, v11 :: v_dual_add_nc_u32 v32, 1, v11
	s_delay_alu instid0(VALU_DEP_1) | instskip(NEXT) | instid1(VALU_DEP_1)
	v_dual_fma_f32 v34, -v18, v11, v8 :: v_dual_fma_f32 v35, -v32, v11, v8
	v_cmp_ge_f32_e64 s0, 0, v34
	s_delay_alu instid0(VALU_DEP_1) | instskip(NEXT) | instid1(VALU_DEP_3)
	v_dual_mov_b32 v34, 0 :: v_dual_cndmask_b32 v11, v11, v18, s0
	v_cmp_lt_f32_e64 s0, 0, v35
	s_delay_alu instid0(VALU_DEP_1) | instskip(NEXT) | instid1(VALU_DEP_1)
	v_dual_mov_b32 v35, 0 :: v_dual_cndmask_b32 v11, v11, v32, s0
	v_mul_f32_e32 v18, 0x37800000, v11
	s_delay_alu instid0(VALU_DEP_1) | instskip(SKIP_1) | instid1(VALU_DEP_1)
	v_cndmask_b32_e32 v11, v11, v18, vcc_lo
	v_cmp_class_f32_e64 vcc_lo, v8, 0x260
	v_dual_cndmask_b32 v18, v11, v8, vcc_lo :: v_dual_mov_b32 v8, 0
	s_delay_alu instid0(VALU_DEP_1)
	v_cmpx_gt_f32_e32 s40, v18
	s_cbranch_execz .LBB4_38
; %bb.42:                               ;   in Loop: Header=BB4_40 Depth=2
	global_load_b96 v[42:44], v[26:27], off offset:-4
	v_div_scale_f32 v8, null, v18, v18, v33
	v_div_scale_f32 v11, null, v18, v18, v31
	;; [unrolled: 1-line block ×3, first 2 shown]
	s_delay_alu instid0(VALU_DEP_3) | instskip(NEXT) | instid1(VALU_DEP_2)
	v_rcp_f32_e32 v34, v8
	v_rcp_f32_e32 v35, v11
	v_div_scale_f32 v45, vcc_lo, v33, v18, v33
	s_delay_alu instid0(VALU_DEP_2) | instskip(SKIP_1) | instid1(TRANS32_DEP_3)
	v_rcp_f32_e32 v41, v32
	v_div_scale_f32 v46, s0, v31, v18, v31
	v_fma_f32 v47, -v8, v34, 1.0
	s_delay_alu instid0(TRANS32_DEP_2) | instskip(SKIP_1) | instid1(TRANS32_DEP_1)
	v_fma_f32 v48, -v11, v35, 1.0
	v_div_scale_f32 v50, s1, v30, v18, v30
	v_fma_f32 v49, -v32, v41, 1.0
	s_delay_alu instid0(VALU_DEP_3) | instskip(NEXT) | instid1(VALU_DEP_1)
	v_dual_fmac_f32 v34, v47, v34 :: v_dual_fmac_f32 v35, v48, v35
	v_dual_fmac_f32 v41, v49, v41 :: v_dual_mul_f32 v48, v46, v35
	s_delay_alu instid0(VALU_DEP_1) | instskip(NEXT) | instid1(VALU_DEP_1)
	v_dual_mul_f32 v47, v45, v34 :: v_dual_mul_f32 v49, v50, v41
	v_dual_fma_f32 v52, -v11, v48, v46 :: v_dual_fma_f32 v51, -v8, v47, v45
	s_delay_alu instid0(VALU_DEP_1) | instskip(NEXT) | instid1(VALU_DEP_1)
	v_dual_fma_f32 v53, -v32, v49, v50 :: v_dual_fmac_f32 v47, v51, v34
	v_dual_fmac_f32 v48, v52, v35 :: v_dual_fmac_f32 v49, v53, v41
	v_mov_b64_e32 v[52:53], s[26:27]
	s_delay_alu instid0(VALU_DEP_2) | instskip(NEXT) | instid1(VALU_DEP_3)
	v_dual_fma_f32 v8, -v8, v47, v45 :: v_dual_fma_f32 v11, -v11, v48, v46
	v_fma_f32 v32, -v32, v49, v50
	v_mov_b64_e32 v[50:51], s[30:31]
	s_delay_alu instid0(VALU_DEP_3) | instskip(SKIP_3) | instid1(VALU_DEP_1)
	v_div_fmas_f32 v8, v8, v34, v47
	s_mov_b32 vcc_lo, s0
	v_div_fmas_f32 v11, v11, v35, v48
	s_mov_b32 vcc_lo, s1
	v_div_fixup_f32 v47, v11, v18, v31
	v_div_fixup_f32 v11, v8, v18, v33
	s_wait_loadcnt 0x0
	v_mov_b32_e32 v34, v43
	v_div_fmas_f32 v32, v32, v41, v49
	v_dual_mov_b32 v35, v44 :: v_dual_mov_b32 v44, s40
	v_mov_b32_e32 v45, v42
	v_mov_b64_e32 v[48:49], s[34:35]
	s_delay_alu instid0(VALU_DEP_4) | instskip(NEXT) | instid1(VALU_DEP_4)
	v_div_fixup_f32 v46, v32, v18, v30
	v_pk_add_f32 v[34:35], v[34:35], v[22:23] neg_lo:[0,1] neg_hi:[0,1]
	s_delay_alu instid0(VALU_DEP_4) | instskip(NEXT) | instid1(VALU_DEP_2)
	v_pk_add_f32 v[42:43], v[44:45], v[18:19] neg_lo:[0,1] neg_hi:[0,1]
	v_pk_mul_f32 v[44:45], v[46:47], v[34:35]
	v_pk_mul_f32 v[50:51], v[50:51], v[34:35]
	s_delay_alu instid0(VALU_DEP_3) | instskip(NEXT) | instid1(VALU_DEP_3)
	v_pk_mul_f32 v[48:49], v[42:43], v[48:49]
	v_fma_f32 v8, v11, v43, v44
	s_delay_alu instid0(VALU_DEP_2) | instskip(NEXT) | instid1(VALU_DEP_2)
	v_pk_fma_f32 v[50:51], v[46:47], v[48:49], v[50:51] op_sel_hi:[1,0,1]
	v_add_f32_e32 v8, v45, v8
	v_mov_b64_e32 v[44:45], s[2:3]
	s_delay_alu instid0(VALU_DEP_2) | instskip(SKIP_3) | instid1(VALU_DEP_4)
	v_fma_f32 v32, -v11, v8, v43
	v_pk_fma_f32 v[34:35], v[46:47], v[8:9], v[34:35] op_sel_hi:[1,0,1] neg_lo:[1,0,0] neg_hi:[1,0,0]
	v_mov_b64_e32 v[42:43], s[24:25]
	v_fma_f32 v8, v11, v48, v49
	v_pk_mul_f32 v[32:33], v[44:45], v[32:33]
	s_delay_alu instid0(VALU_DEP_4) | instskip(NEXT) | instid1(VALU_DEP_2)
	v_pk_fma_f32 v[34:35], v[52:53], v[34:35], v[50:51]
	v_add_f32_e32 v8, v8, v32
	s_delay_alu instid0(VALU_DEP_2) | instskip(NEXT) | instid1(VALU_DEP_1)
	v_pk_fma_f32 v[30:31], v[42:43], v[30:31], v[34:35]
	v_dual_add_f32 v34, v33, v8 :: v_dual_mov_b32 v35, v30
	s_delay_alu instid0(VALU_DEP_2)
	v_mov_b32_e32 v8, v31
	s_branch .LBB4_38
.LBB4_43:                               ;   in Loop: Header=BB4_5 Depth=1
	s_or_b32 exec_lo, exec_lo, s37
.LBB4_44:                               ;   in Loop: Header=BB4_5 Depth=1
	s_delay_alu instid0(SALU_CYCLE_1)
	s_or_b32 exec_lo, exec_lo, s36
.LBB4_45:                               ;   in Loop: Header=BB4_5 Depth=1
	s_delay_alu instid0(SALU_CYCLE_1)
	s_or_b32 exec_lo, exec_lo, s29
	v_mad_u32 v8, v39, s21, v37
	s_mov_b32 s29, exec_lo
	global_load_b32 v10, v8, s[12:13] scale_offset
	s_wait_loadcnt 0x0
	v_cmpx_ne_u32_e32 -1, v10
	s_cbranch_execz .LBB4_55
; %bb.46:                               ;   in Loop: Header=BB4_5 Depth=1
	v_lshl_add_u64 v[26:27], v[8:9], 2, s[14:15]
	s_mov_b32 s36, exec_lo
	global_load_b32 v40, v[26:27], off
	s_wait_loadcnt 0x0
	v_cmpx_lt_u32_e64 v10, v40
	s_cbranch_execz .LBB4_54
; %bb.47:                               ;   in Loop: Header=BB4_5 Depth=1
	v_mov_b32_e32 v11, v9
	s_mov_b32 s37, 0
	s_delay_alu instid0(VALU_DEP_1) | instskip(NEXT) | instid1(VALU_DEP_1)
	v_lshlrev_b64_e32 v[28:29], 4, v[10:11]
	v_add_nc_u64_e32 v[26:27], s[8:9], v[28:29]
	v_add_nc_u64_e32 v[28:29], s[6:7], v[28:29]
	s_branch .LBB4_50
.LBB4_48:                               ;   in Loop: Header=BB4_50 Depth=2
	s_or_b32 exec_lo, exec_lo, s42
	s_delay_alu instid0(VALU_DEP_1)
	v_pk_add_f32 v[6:7], v[6:7], v[8:9]
	v_pk_add_f32 v[4:5], v[4:5], v[34:35]
.LBB4_49:                               ;   in Loop: Header=BB4_50 Depth=2
	s_or_b32 exec_lo, exec_lo, s41
	v_add_nc_u32_e32 v10, 1, v10
	v_add_nc_u64_e32 v[26:27], 16, v[26:27]
	v_add_nc_u64_e32 v[28:29], 16, v[28:29]
	s_delay_alu instid0(VALU_DEP_3) | instskip(SKIP_1) | instid1(SALU_CYCLE_1)
	v_cmp_ge_u32_e32 vcc_lo, v10, v40
	s_or_b32 s37, vcc_lo, s37
	s_and_not1_b32 exec_lo, exec_lo, s37
	s_cbranch_execz .LBB4_53
.LBB4_50:                               ;   Parent Loop BB4_5 Depth=1
                                        ; =>  This Inner Loop Header: Depth=2
	s_mov_b32 s41, exec_lo
	v_cmpx_ne_u32_e64 v20, v10
	s_cbranch_execz .LBB4_49
; %bb.51:                               ;   in Loop: Header=BB4_50 Depth=2
	global_load_b96 v[32:34], v[28:29], off offset:-4
	s_mov_b32 s42, exec_lo
	s_wait_loadcnt 0x0
	v_dual_mov_b32 v30, v33 :: v_dual_mov_b32 v31, v34
	v_sub_f32_e32 v33, v32, v16
	s_delay_alu instid0(VALU_DEP_2) | instskip(NEXT) | instid1(VALU_DEP_1)
	v_pk_add_f32 v[30:31], v[30:31], v[24:25] neg_lo:[0,1] neg_hi:[0,1]
	v_pk_mul_f32 v[34:35], v[30:31], v[30:31]
	s_delay_alu instid0(VALU_DEP_1) | instskip(NEXT) | instid1(VALU_DEP_1)
	v_fma_f32 v8, v33, v33, v34
	v_add_f32_e32 v8, v35, v8
	s_delay_alu instid0(VALU_DEP_1) | instskip(SKIP_1) | instid1(VALU_DEP_2)
	v_mul_f32_e32 v11, 0x4f800000, v8
	v_cmp_gt_f32_e32 vcc_lo, 0xf800000, v8
	v_cndmask_b32_e32 v8, v8, v11, vcc_lo
	s_delay_alu instid0(VALU_DEP_1) | instskip(SKIP_1) | instid1(TRANS32_DEP_1)
	v_sqrt_f32_e32 v11, v8
	v_nop
	v_dual_add_nc_u32 v18, -1, v11 :: v_dual_add_nc_u32 v32, 1, v11
	s_delay_alu instid0(VALU_DEP_1) | instskip(NEXT) | instid1(VALU_DEP_1)
	v_dual_fma_f32 v34, -v18, v11, v8 :: v_dual_fma_f32 v35, -v32, v11, v8
	v_cmp_ge_f32_e64 s0, 0, v34
	s_delay_alu instid0(VALU_DEP_1) | instskip(NEXT) | instid1(VALU_DEP_3)
	v_dual_mov_b32 v34, 0 :: v_dual_cndmask_b32 v11, v11, v18, s0
	v_cmp_lt_f32_e64 s0, 0, v35
	s_delay_alu instid0(VALU_DEP_1) | instskip(NEXT) | instid1(VALU_DEP_1)
	v_dual_mov_b32 v35, 0 :: v_dual_cndmask_b32 v11, v11, v32, s0
	v_mul_f32_e32 v18, 0x37800000, v11
	s_delay_alu instid0(VALU_DEP_1) | instskip(SKIP_1) | instid1(VALU_DEP_1)
	v_cndmask_b32_e32 v11, v11, v18, vcc_lo
	v_cmp_class_f32_e64 vcc_lo, v8, 0x260
	v_dual_cndmask_b32 v18, v11, v8, vcc_lo :: v_dual_mov_b32 v8, 0
	s_delay_alu instid0(VALU_DEP_1)
	v_cmpx_gt_f32_e32 s40, v18
	s_cbranch_execz .LBB4_48
; %bb.52:                               ;   in Loop: Header=BB4_50 Depth=2
	global_load_b96 v[42:44], v[26:27], off offset:-4
	v_div_scale_f32 v8, null, v18, v18, v33
	v_div_scale_f32 v11, null, v18, v18, v31
	;; [unrolled: 1-line block ×3, first 2 shown]
	s_delay_alu instid0(VALU_DEP_3) | instskip(NEXT) | instid1(VALU_DEP_2)
	v_rcp_f32_e32 v34, v8
	v_rcp_f32_e32 v35, v11
	v_div_scale_f32 v45, vcc_lo, v33, v18, v33
	s_delay_alu instid0(VALU_DEP_2) | instskip(SKIP_1) | instid1(TRANS32_DEP_3)
	v_rcp_f32_e32 v41, v32
	v_div_scale_f32 v46, s0, v31, v18, v31
	v_fma_f32 v47, -v8, v34, 1.0
	s_delay_alu instid0(TRANS32_DEP_2) | instskip(SKIP_1) | instid1(TRANS32_DEP_1)
	v_fma_f32 v48, -v11, v35, 1.0
	v_div_scale_f32 v50, s1, v30, v18, v30
	v_fma_f32 v49, -v32, v41, 1.0
	s_delay_alu instid0(VALU_DEP_3) | instskip(NEXT) | instid1(VALU_DEP_1)
	v_dual_fmac_f32 v34, v47, v34 :: v_dual_fmac_f32 v35, v48, v35
	v_dual_fmac_f32 v41, v49, v41 :: v_dual_mul_f32 v48, v46, v35
	s_delay_alu instid0(VALU_DEP_1) | instskip(NEXT) | instid1(VALU_DEP_1)
	v_dual_mul_f32 v47, v45, v34 :: v_dual_mul_f32 v49, v50, v41
	v_dual_fma_f32 v52, -v11, v48, v46 :: v_dual_fma_f32 v51, -v8, v47, v45
	s_delay_alu instid0(VALU_DEP_1) | instskip(NEXT) | instid1(VALU_DEP_1)
	v_dual_fma_f32 v53, -v32, v49, v50 :: v_dual_fmac_f32 v47, v51, v34
	v_dual_fmac_f32 v48, v52, v35 :: v_dual_fmac_f32 v49, v53, v41
	v_mov_b64_e32 v[52:53], s[26:27]
	s_delay_alu instid0(VALU_DEP_2) | instskip(NEXT) | instid1(VALU_DEP_3)
	v_dual_fma_f32 v8, -v8, v47, v45 :: v_dual_fma_f32 v11, -v11, v48, v46
	v_fma_f32 v32, -v32, v49, v50
	v_mov_b64_e32 v[50:51], s[30:31]
	s_delay_alu instid0(VALU_DEP_3) | instskip(SKIP_3) | instid1(VALU_DEP_1)
	v_div_fmas_f32 v8, v8, v34, v47
	s_mov_b32 vcc_lo, s0
	v_div_fmas_f32 v11, v11, v35, v48
	s_mov_b32 vcc_lo, s1
	v_div_fixup_f32 v47, v11, v18, v31
	v_div_fixup_f32 v11, v8, v18, v33
	s_wait_loadcnt 0x0
	v_mov_b32_e32 v34, v43
	v_div_fmas_f32 v32, v32, v41, v49
	v_dual_mov_b32 v35, v44 :: v_dual_mov_b32 v44, s40
	v_mov_b32_e32 v45, v42
	v_mov_b64_e32 v[48:49], s[34:35]
	s_delay_alu instid0(VALU_DEP_4) | instskip(NEXT) | instid1(VALU_DEP_4)
	v_div_fixup_f32 v46, v32, v18, v30
	v_pk_add_f32 v[34:35], v[34:35], v[22:23] neg_lo:[0,1] neg_hi:[0,1]
	s_delay_alu instid0(VALU_DEP_4) | instskip(NEXT) | instid1(VALU_DEP_2)
	v_pk_add_f32 v[42:43], v[44:45], v[18:19] neg_lo:[0,1] neg_hi:[0,1]
	v_pk_mul_f32 v[44:45], v[46:47], v[34:35]
	v_pk_mul_f32 v[50:51], v[50:51], v[34:35]
	s_delay_alu instid0(VALU_DEP_3) | instskip(NEXT) | instid1(VALU_DEP_3)
	v_pk_mul_f32 v[48:49], v[42:43], v[48:49]
	v_fma_f32 v8, v11, v43, v44
	s_delay_alu instid0(VALU_DEP_2) | instskip(NEXT) | instid1(VALU_DEP_2)
	v_pk_fma_f32 v[50:51], v[46:47], v[48:49], v[50:51] op_sel_hi:[1,0,1]
	v_add_f32_e32 v8, v45, v8
	v_mov_b64_e32 v[44:45], s[2:3]
	s_delay_alu instid0(VALU_DEP_2) | instskip(SKIP_3) | instid1(VALU_DEP_4)
	v_fma_f32 v32, -v11, v8, v43
	v_pk_fma_f32 v[34:35], v[46:47], v[8:9], v[34:35] op_sel_hi:[1,0,1] neg_lo:[1,0,0] neg_hi:[1,0,0]
	v_mov_b64_e32 v[42:43], s[24:25]
	v_fma_f32 v8, v11, v48, v49
	v_pk_mul_f32 v[32:33], v[44:45], v[32:33]
	s_delay_alu instid0(VALU_DEP_4) | instskip(NEXT) | instid1(VALU_DEP_2)
	v_pk_fma_f32 v[34:35], v[52:53], v[34:35], v[50:51]
	v_add_f32_e32 v8, v8, v32
	s_delay_alu instid0(VALU_DEP_2) | instskip(NEXT) | instid1(VALU_DEP_1)
	v_pk_fma_f32 v[30:31], v[42:43], v[30:31], v[34:35]
	v_dual_add_f32 v34, v33, v8 :: v_dual_mov_b32 v35, v30
	s_delay_alu instid0(VALU_DEP_2)
	v_mov_b32_e32 v8, v31
	s_branch .LBB4_48
.LBB4_53:                               ;   in Loop: Header=BB4_5 Depth=1
	s_or_b32 exec_lo, exec_lo, s37
.LBB4_54:                               ;   in Loop: Header=BB4_5 Depth=1
	s_delay_alu instid0(SALU_CYCLE_1)
	s_or_b32 exec_lo, exec_lo, s36
.LBB4_55:                               ;   in Loop: Header=BB4_5 Depth=1
	s_delay_alu instid0(SALU_CYCLE_1)
	s_or_b32 exec_lo, exec_lo, s29
	v_mad_u32 v8, v39, s21, v38
	s_mov_b32 s29, exec_lo
	global_load_b32 v10, v8, s[12:13] scale_offset
	s_wait_loadcnt 0x0
	v_cmpx_ne_u32_e32 -1, v10
	s_cbranch_execz .LBB4_65
; %bb.56:                               ;   in Loop: Header=BB4_5 Depth=1
	v_lshl_add_u64 v[26:27], v[8:9], 2, s[14:15]
	s_mov_b32 s36, exec_lo
	global_load_b32 v39, v[26:27], off
	s_wait_loadcnt 0x0
	v_cmpx_lt_u32_e64 v10, v39
	s_cbranch_execz .LBB4_64
; %bb.57:                               ;   in Loop: Header=BB4_5 Depth=1
	v_mov_b32_e32 v11, v9
	s_mov_b32 s37, 0
	s_delay_alu instid0(VALU_DEP_1) | instskip(NEXT) | instid1(VALU_DEP_1)
	v_lshlrev_b64_e32 v[28:29], 4, v[10:11]
	v_add_nc_u64_e32 v[26:27], s[8:9], v[28:29]
	v_add_nc_u64_e32 v[28:29], s[6:7], v[28:29]
	s_branch .LBB4_60
.LBB4_58:                               ;   in Loop: Header=BB4_60 Depth=2
	s_or_b32 exec_lo, exec_lo, s42
	s_delay_alu instid0(VALU_DEP_2) | instskip(NEXT) | instid1(VALU_DEP_2)
	v_pk_add_f32 v[6:7], v[6:7], v[8:9]
	v_pk_add_f32 v[4:5], v[4:5], v[34:35]
.LBB4_59:                               ;   in Loop: Header=BB4_60 Depth=2
	s_or_b32 exec_lo, exec_lo, s41
	v_add_nc_u32_e32 v10, 1, v10
	v_add_nc_u64_e32 v[26:27], 16, v[26:27]
	v_add_nc_u64_e32 v[28:29], 16, v[28:29]
	s_delay_alu instid0(VALU_DEP_3) | instskip(SKIP_1) | instid1(SALU_CYCLE_1)
	v_cmp_ge_u32_e32 vcc_lo, v10, v39
	s_or_b32 s37, vcc_lo, s37
	s_and_not1_b32 exec_lo, exec_lo, s37
	s_cbranch_execz .LBB4_63
.LBB4_60:                               ;   Parent Loop BB4_5 Depth=1
                                        ; =>  This Inner Loop Header: Depth=2
	s_mov_b32 s41, exec_lo
	v_cmpx_ne_u32_e64 v20, v10
	s_cbranch_execz .LBB4_59
; %bb.61:                               ;   in Loop: Header=BB4_60 Depth=2
	global_load_b96 v[32:34], v[28:29], off offset:-4
	s_mov_b32 s42, exec_lo
	s_wait_loadcnt 0x0
	v_dual_mov_b32 v30, v33 :: v_dual_mov_b32 v31, v34
	v_sub_f32_e32 v33, v32, v16
	s_delay_alu instid0(VALU_DEP_2) | instskip(NEXT) | instid1(VALU_DEP_1)
	v_pk_add_f32 v[30:31], v[30:31], v[24:25] neg_lo:[0,1] neg_hi:[0,1]
	v_pk_mul_f32 v[34:35], v[30:31], v[30:31]
	s_delay_alu instid0(VALU_DEP_1) | instskip(NEXT) | instid1(VALU_DEP_1)
	v_fma_f32 v8, v33, v33, v34
	v_add_f32_e32 v8, v35, v8
	s_delay_alu instid0(VALU_DEP_1) | instskip(SKIP_1) | instid1(VALU_DEP_2)
	v_mul_f32_e32 v11, 0x4f800000, v8
	v_cmp_gt_f32_e32 vcc_lo, 0xf800000, v8
	v_cndmask_b32_e32 v8, v8, v11, vcc_lo
	s_delay_alu instid0(VALU_DEP_1) | instskip(SKIP_1) | instid1(TRANS32_DEP_1)
	v_sqrt_f32_e32 v11, v8
	v_nop
	v_dual_add_nc_u32 v18, -1, v11 :: v_dual_add_nc_u32 v32, 1, v11
	s_delay_alu instid0(VALU_DEP_1) | instskip(NEXT) | instid1(VALU_DEP_1)
	v_dual_fma_f32 v34, -v18, v11, v8 :: v_dual_fma_f32 v35, -v32, v11, v8
	v_cmp_ge_f32_e64 s0, 0, v34
	s_delay_alu instid0(VALU_DEP_1) | instskip(NEXT) | instid1(VALU_DEP_3)
	v_dual_mov_b32 v34, 0 :: v_dual_cndmask_b32 v11, v11, v18, s0
	v_cmp_lt_f32_e64 s0, 0, v35
	s_delay_alu instid0(VALU_DEP_1) | instskip(NEXT) | instid1(VALU_DEP_1)
	v_dual_mov_b32 v35, 0 :: v_dual_cndmask_b32 v11, v11, v32, s0
	v_mul_f32_e32 v18, 0x37800000, v11
	s_delay_alu instid0(VALU_DEP_1) | instskip(SKIP_1) | instid1(VALU_DEP_1)
	v_cndmask_b32_e32 v11, v11, v18, vcc_lo
	v_cmp_class_f32_e64 vcc_lo, v8, 0x260
	v_dual_cndmask_b32 v18, v11, v8, vcc_lo :: v_dual_mov_b32 v8, 0
	s_delay_alu instid0(VALU_DEP_1)
	v_cmpx_gt_f32_e32 s40, v18
	s_cbranch_execz .LBB4_58
; %bb.62:                               ;   in Loop: Header=BB4_60 Depth=2
	global_load_b96 v[40:42], v[26:27], off offset:-4
	v_div_scale_f32 v8, null, v18, v18, v33
	v_div_scale_f32 v11, null, v18, v18, v31
	;; [unrolled: 1-line block ×3, first 2 shown]
	s_delay_alu instid0(VALU_DEP_3) | instskip(NEXT) | instid1(VALU_DEP_2)
	v_rcp_f32_e32 v34, v8
	v_rcp_f32_e32 v35, v11
	v_div_scale_f32 v44, vcc_lo, v33, v18, v33
	s_delay_alu instid0(VALU_DEP_2) | instskip(SKIP_1) | instid1(TRANS32_DEP_3)
	v_rcp_f32_e32 v43, v32
	v_div_scale_f32 v45, s0, v31, v18, v31
	v_fma_f32 v46, -v8, v34, 1.0
	s_delay_alu instid0(TRANS32_DEP_2) | instskip(SKIP_1) | instid1(TRANS32_DEP_1)
	v_fma_f32 v47, -v11, v35, 1.0
	v_div_scale_f32 v49, s1, v30, v18, v30
	v_fma_f32 v48, -v32, v43, 1.0
	s_delay_alu instid0(VALU_DEP_3) | instskip(NEXT) | instid1(VALU_DEP_1)
	v_dual_fmac_f32 v34, v46, v34 :: v_dual_fmac_f32 v35, v47, v35
	v_dual_mul_f32 v46, v44, v34 :: v_dual_mul_f32 v47, v45, v35
	s_delay_alu instid0(VALU_DEP_1) | instskip(NEXT) | instid1(VALU_DEP_1)
	v_dual_fma_f32 v50, -v8, v46, v44 :: v_dual_fma_f32 v51, -v11, v47, v45
	v_dual_fmac_f32 v43, v48, v43 :: v_dual_fmac_f32 v46, v50, v34
	s_delay_alu instid0(VALU_DEP_2) | instskip(NEXT) | instid1(VALU_DEP_2)
	v_fmac_f32_e32 v47, v51, v35
	v_mul_f32_e32 v48, v49, v43
	v_mov_b64_e32 v[50:51], s[26:27]
	s_delay_alu instid0(VALU_DEP_3) | instskip(NEXT) | instid1(VALU_DEP_3)
	v_dual_fma_f32 v8, -v8, v46, v44 :: v_dual_fma_f32 v11, -v11, v47, v45
	v_fma_f32 v52, -v32, v48, v49
	s_delay_alu instid0(VALU_DEP_2) | instskip(SKIP_1) | instid1(VALU_DEP_2)
	v_div_fmas_f32 v8, v8, v34, v46
	s_mov_b32 vcc_lo, s0
	v_fmac_f32_e32 v48, v52, v43
	v_div_fmas_f32 v11, v11, v35, v47
	s_mov_b32 vcc_lo, s1
	v_mov_b64_e32 v[46:47], s[34:35]
	s_delay_alu instid0(VALU_DEP_2) | instskip(SKIP_4) | instid1(VALU_DEP_2)
	v_div_fixup_f32 v45, v11, v18, v31
	v_div_fixup_f32 v11, v8, v18, v33
	s_wait_loadcnt 0x0
	v_dual_mov_b32 v34, v41 :: v_dual_fma_f32 v32, -v32, v48, v49
	v_dual_mov_b32 v35, v42 :: v_dual_mov_b32 v42, s40
	v_div_fmas_f32 v32, v32, v43, v48
	v_mov_b32_e32 v43, v40
	s_delay_alu instid0(VALU_DEP_3) | instskip(SKIP_1) | instid1(VALU_DEP_4)
	v_pk_add_f32 v[34:35], v[34:35], v[22:23] neg_lo:[0,1] neg_hi:[0,1]
	v_mov_b64_e32 v[48:49], s[30:31]
	v_div_fixup_f32 v44, v32, v18, v30
	s_delay_alu instid0(VALU_DEP_4) | instskip(NEXT) | instid1(VALU_DEP_3)
	v_pk_add_f32 v[40:41], v[42:43], v[18:19] neg_lo:[0,1] neg_hi:[0,1]
	v_pk_mul_f32 v[48:49], v[48:49], v[34:35]
	s_delay_alu instid0(VALU_DEP_3) | instskip(NEXT) | instid1(VALU_DEP_3)
	v_pk_mul_f32 v[42:43], v[44:45], v[34:35]
	v_pk_mul_f32 v[46:47], v[40:41], v[46:47]
	s_delay_alu instid0(VALU_DEP_2) | instskip(NEXT) | instid1(VALU_DEP_2)
	v_fma_f32 v8, v11, v41, v42
	v_pk_fma_f32 v[48:49], v[44:45], v[46:47], v[48:49] op_sel_hi:[1,0,1]
	s_delay_alu instid0(VALU_DEP_2) | instskip(SKIP_1) | instid1(VALU_DEP_2)
	v_add_f32_e32 v8, v43, v8
	v_mov_b64_e32 v[42:43], s[2:3]
	v_fma_f32 v32, -v11, v8, v41
	v_pk_fma_f32 v[34:35], v[44:45], v[8:9], v[34:35] op_sel_hi:[1,0,1] neg_lo:[1,0,0] neg_hi:[1,0,0]
	v_mov_b64_e32 v[40:41], s[24:25]
	v_fma_f32 v8, v11, v46, v47
	s_delay_alu instid0(VALU_DEP_4) | instskip(NEXT) | instid1(VALU_DEP_4)
	v_pk_mul_f32 v[32:33], v[42:43], v[32:33]
	v_pk_fma_f32 v[34:35], v[50:51], v[34:35], v[48:49]
	s_delay_alu instid0(VALU_DEP_2) | instskip(NEXT) | instid1(VALU_DEP_2)
	v_add_f32_e32 v8, v8, v32
	v_pk_fma_f32 v[30:31], v[40:41], v[30:31], v[34:35]
	s_delay_alu instid0(VALU_DEP_1) | instskip(NEXT) | instid1(VALU_DEP_2)
	v_dual_add_f32 v34, v33, v8 :: v_dual_mov_b32 v8, v31
	v_mov_b32_e32 v35, v30
	s_branch .LBB4_58
.LBB4_63:                               ;   in Loop: Header=BB4_5 Depth=1
	s_or_b32 exec_lo, exec_lo, s37
.LBB4_64:                               ;   in Loop: Header=BB4_5 Depth=1
	s_delay_alu instid0(SALU_CYCLE_1)
	s_or_b32 exec_lo, exec_lo, s36
.LBB4_65:                               ;   in Loop: Header=BB4_5 Depth=1
	s_delay_alu instid0(SALU_CYCLE_1) | instskip(SKIP_2) | instid1(VALU_DEP_1)
	s_or_b32 exec_lo, exec_lo, s29
	v_add_nc_u32_e32 v8, 1, v13
	s_mov_b32 s29, exec_lo
	v_and_b32_e32 v8, s39, v8
	s_delay_alu instid0(VALU_DEP_1) | instskip(NEXT) | instid1(VALU_DEP_1)
	v_mad_u32 v36, v36, s22, v8
	v_mad_u32 v8, v36, s21, v15
	global_load_b32 v10, v8, s[12:13] scale_offset
	s_wait_loadcnt 0x0
	v_cmpx_ne_u32_e32 -1, v10
	s_cbranch_execz .LBB4_75
; %bb.66:                               ;   in Loop: Header=BB4_5 Depth=1
	v_lshl_add_u64 v[26:27], v[8:9], 2, s[14:15]
	s_mov_b32 s36, exec_lo
	global_load_b32 v39, v[26:27], off
	s_wait_loadcnt 0x0
	v_cmpx_lt_u32_e64 v10, v39
	s_cbranch_execz .LBB4_74
; %bb.67:                               ;   in Loop: Header=BB4_5 Depth=1
	v_mov_b32_e32 v11, v9
	s_mov_b32 s37, 0
	s_delay_alu instid0(VALU_DEP_1) | instskip(NEXT) | instid1(VALU_DEP_1)
	v_lshlrev_b64_e32 v[28:29], 4, v[10:11]
	v_add_nc_u64_e32 v[26:27], s[8:9], v[28:29]
	v_add_nc_u64_e32 v[28:29], s[6:7], v[28:29]
	s_branch .LBB4_70
.LBB4_68:                               ;   in Loop: Header=BB4_70 Depth=2
	s_or_b32 exec_lo, exec_lo, s42
	s_delay_alu instid0(VALU_DEP_2) | instskip(NEXT) | instid1(VALU_DEP_2)
	v_pk_add_f32 v[6:7], v[6:7], v[8:9]
	v_pk_add_f32 v[4:5], v[4:5], v[34:35]
.LBB4_69:                               ;   in Loop: Header=BB4_70 Depth=2
	s_or_b32 exec_lo, exec_lo, s41
	v_add_nc_u32_e32 v10, 1, v10
	v_add_nc_u64_e32 v[26:27], 16, v[26:27]
	v_add_nc_u64_e32 v[28:29], 16, v[28:29]
	s_delay_alu instid0(VALU_DEP_3) | instskip(SKIP_1) | instid1(SALU_CYCLE_1)
	v_cmp_ge_u32_e32 vcc_lo, v10, v39
	s_or_b32 s37, vcc_lo, s37
	s_and_not1_b32 exec_lo, exec_lo, s37
	s_cbranch_execz .LBB4_73
.LBB4_70:                               ;   Parent Loop BB4_5 Depth=1
                                        ; =>  This Inner Loop Header: Depth=2
	s_mov_b32 s41, exec_lo
	v_cmpx_ne_u32_e64 v20, v10
	s_cbranch_execz .LBB4_69
; %bb.71:                               ;   in Loop: Header=BB4_70 Depth=2
	global_load_b96 v[32:34], v[28:29], off offset:-4
	s_mov_b32 s42, exec_lo
	s_wait_loadcnt 0x0
	v_dual_mov_b32 v30, v33 :: v_dual_mov_b32 v31, v34
	v_sub_f32_e32 v33, v32, v16
	s_delay_alu instid0(VALU_DEP_2) | instskip(NEXT) | instid1(VALU_DEP_1)
	v_pk_add_f32 v[30:31], v[30:31], v[24:25] neg_lo:[0,1] neg_hi:[0,1]
	v_pk_mul_f32 v[34:35], v[30:31], v[30:31]
	s_delay_alu instid0(VALU_DEP_1) | instskip(NEXT) | instid1(VALU_DEP_1)
	v_fma_f32 v8, v33, v33, v34
	v_add_f32_e32 v8, v35, v8
	s_delay_alu instid0(VALU_DEP_1) | instskip(SKIP_1) | instid1(VALU_DEP_2)
	v_mul_f32_e32 v11, 0x4f800000, v8
	v_cmp_gt_f32_e32 vcc_lo, 0xf800000, v8
	v_cndmask_b32_e32 v8, v8, v11, vcc_lo
	s_delay_alu instid0(VALU_DEP_1) | instskip(SKIP_1) | instid1(TRANS32_DEP_1)
	v_sqrt_f32_e32 v11, v8
	v_nop
	v_dual_add_nc_u32 v18, -1, v11 :: v_dual_add_nc_u32 v32, 1, v11
	s_delay_alu instid0(VALU_DEP_1) | instskip(NEXT) | instid1(VALU_DEP_1)
	v_dual_fma_f32 v34, -v18, v11, v8 :: v_dual_fma_f32 v35, -v32, v11, v8
	v_cmp_ge_f32_e64 s0, 0, v34
	s_delay_alu instid0(VALU_DEP_1) | instskip(NEXT) | instid1(VALU_DEP_3)
	v_dual_mov_b32 v34, 0 :: v_dual_cndmask_b32 v11, v11, v18, s0
	v_cmp_lt_f32_e64 s0, 0, v35
	s_delay_alu instid0(VALU_DEP_1) | instskip(NEXT) | instid1(VALU_DEP_1)
	v_dual_mov_b32 v35, 0 :: v_dual_cndmask_b32 v11, v11, v32, s0
	v_mul_f32_e32 v18, 0x37800000, v11
	s_delay_alu instid0(VALU_DEP_1) | instskip(SKIP_1) | instid1(VALU_DEP_1)
	v_cndmask_b32_e32 v11, v11, v18, vcc_lo
	v_cmp_class_f32_e64 vcc_lo, v8, 0x260
	v_dual_cndmask_b32 v18, v11, v8, vcc_lo :: v_dual_mov_b32 v8, 0
	s_delay_alu instid0(VALU_DEP_1)
	v_cmpx_gt_f32_e32 s40, v18
	s_cbranch_execz .LBB4_68
; %bb.72:                               ;   in Loop: Header=BB4_70 Depth=2
	global_load_b96 v[40:42], v[26:27], off offset:-4
	v_div_scale_f32 v8, null, v18, v18, v33
	v_div_scale_f32 v11, null, v18, v18, v31
	;; [unrolled: 1-line block ×3, first 2 shown]
	s_delay_alu instid0(VALU_DEP_3) | instskip(NEXT) | instid1(VALU_DEP_2)
	v_rcp_f32_e32 v34, v8
	v_rcp_f32_e32 v35, v11
	v_div_scale_f32 v44, vcc_lo, v33, v18, v33
	s_delay_alu instid0(VALU_DEP_2) | instskip(SKIP_1) | instid1(TRANS32_DEP_3)
	v_rcp_f32_e32 v43, v32
	v_div_scale_f32 v45, s0, v31, v18, v31
	v_fma_f32 v46, -v8, v34, 1.0
	s_delay_alu instid0(TRANS32_DEP_2) | instskip(SKIP_1) | instid1(TRANS32_DEP_1)
	v_fma_f32 v47, -v11, v35, 1.0
	v_div_scale_f32 v49, s1, v30, v18, v30
	v_fma_f32 v48, -v32, v43, 1.0
	s_delay_alu instid0(VALU_DEP_3) | instskip(NEXT) | instid1(VALU_DEP_1)
	v_dual_fmac_f32 v34, v46, v34 :: v_dual_fmac_f32 v35, v47, v35
	v_dual_mul_f32 v46, v44, v34 :: v_dual_mul_f32 v47, v45, v35
	s_delay_alu instid0(VALU_DEP_1) | instskip(NEXT) | instid1(VALU_DEP_1)
	v_dual_fma_f32 v50, -v8, v46, v44 :: v_dual_fma_f32 v51, -v11, v47, v45
	v_dual_fmac_f32 v43, v48, v43 :: v_dual_fmac_f32 v46, v50, v34
	s_delay_alu instid0(VALU_DEP_2) | instskip(NEXT) | instid1(VALU_DEP_2)
	v_fmac_f32_e32 v47, v51, v35
	v_mul_f32_e32 v48, v49, v43
	v_mov_b64_e32 v[50:51], s[26:27]
	s_delay_alu instid0(VALU_DEP_3) | instskip(NEXT) | instid1(VALU_DEP_3)
	v_dual_fma_f32 v8, -v8, v46, v44 :: v_dual_fma_f32 v11, -v11, v47, v45
	v_fma_f32 v52, -v32, v48, v49
	s_delay_alu instid0(VALU_DEP_2) | instskip(SKIP_1) | instid1(VALU_DEP_2)
	v_div_fmas_f32 v8, v8, v34, v46
	s_mov_b32 vcc_lo, s0
	v_fmac_f32_e32 v48, v52, v43
	v_div_fmas_f32 v11, v11, v35, v47
	s_mov_b32 vcc_lo, s1
	v_mov_b64_e32 v[46:47], s[34:35]
	s_delay_alu instid0(VALU_DEP_2) | instskip(SKIP_4) | instid1(VALU_DEP_2)
	v_div_fixup_f32 v45, v11, v18, v31
	v_div_fixup_f32 v11, v8, v18, v33
	s_wait_loadcnt 0x0
	v_dual_mov_b32 v34, v41 :: v_dual_fma_f32 v32, -v32, v48, v49
	v_dual_mov_b32 v35, v42 :: v_dual_mov_b32 v42, s40
	v_div_fmas_f32 v32, v32, v43, v48
	v_mov_b32_e32 v43, v40
	s_delay_alu instid0(VALU_DEP_3) | instskip(SKIP_1) | instid1(VALU_DEP_4)
	v_pk_add_f32 v[34:35], v[34:35], v[22:23] neg_lo:[0,1] neg_hi:[0,1]
	v_mov_b64_e32 v[48:49], s[30:31]
	v_div_fixup_f32 v44, v32, v18, v30
	s_delay_alu instid0(VALU_DEP_4) | instskip(NEXT) | instid1(VALU_DEP_3)
	v_pk_add_f32 v[40:41], v[42:43], v[18:19] neg_lo:[0,1] neg_hi:[0,1]
	v_pk_mul_f32 v[48:49], v[48:49], v[34:35]
	s_delay_alu instid0(VALU_DEP_3) | instskip(NEXT) | instid1(VALU_DEP_3)
	v_pk_mul_f32 v[42:43], v[44:45], v[34:35]
	v_pk_mul_f32 v[46:47], v[40:41], v[46:47]
	s_delay_alu instid0(VALU_DEP_2) | instskip(NEXT) | instid1(VALU_DEP_2)
	v_fma_f32 v8, v11, v41, v42
	v_pk_fma_f32 v[48:49], v[44:45], v[46:47], v[48:49] op_sel_hi:[1,0,1]
	s_delay_alu instid0(VALU_DEP_2) | instskip(SKIP_1) | instid1(VALU_DEP_2)
	v_add_f32_e32 v8, v43, v8
	v_mov_b64_e32 v[42:43], s[2:3]
	v_fma_f32 v32, -v11, v8, v41
	v_pk_fma_f32 v[34:35], v[44:45], v[8:9], v[34:35] op_sel_hi:[1,0,1] neg_lo:[1,0,0] neg_hi:[1,0,0]
	v_mov_b64_e32 v[40:41], s[24:25]
	v_fma_f32 v8, v11, v46, v47
	s_delay_alu instid0(VALU_DEP_4) | instskip(NEXT) | instid1(VALU_DEP_4)
	v_pk_mul_f32 v[32:33], v[42:43], v[32:33]
	v_pk_fma_f32 v[34:35], v[50:51], v[34:35], v[48:49]
	s_delay_alu instid0(VALU_DEP_2) | instskip(NEXT) | instid1(VALU_DEP_2)
	v_add_f32_e32 v8, v8, v32
	v_pk_fma_f32 v[30:31], v[40:41], v[30:31], v[34:35]
	s_delay_alu instid0(VALU_DEP_1) | instskip(NEXT) | instid1(VALU_DEP_2)
	v_dual_add_f32 v34, v33, v8 :: v_dual_mov_b32 v8, v31
	v_mov_b32_e32 v35, v30
	s_branch .LBB4_68
.LBB4_73:                               ;   in Loop: Header=BB4_5 Depth=1
	s_or_b32 exec_lo, exec_lo, s37
.LBB4_74:                               ;   in Loop: Header=BB4_5 Depth=1
	s_delay_alu instid0(SALU_CYCLE_1)
	s_or_b32 exec_lo, exec_lo, s36
.LBB4_75:                               ;   in Loop: Header=BB4_5 Depth=1
	s_delay_alu instid0(SALU_CYCLE_1)
	s_or_b32 exec_lo, exec_lo, s29
	v_mad_u32 v8, v36, s21, v37
	s_mov_b32 s29, exec_lo
	global_load_b32 v10, v8, s[12:13] scale_offset
	s_wait_loadcnt 0x0
	v_cmpx_ne_u32_e32 -1, v10
	s_cbranch_execz .LBB4_85
; %bb.76:                               ;   in Loop: Header=BB4_5 Depth=1
	v_lshl_add_u64 v[26:27], v[8:9], 2, s[14:15]
	s_mov_b32 s36, exec_lo
	global_load_b32 v37, v[26:27], off
	s_wait_loadcnt 0x0
	v_cmpx_lt_u32_e64 v10, v37
	s_cbranch_execz .LBB4_84
; %bb.77:                               ;   in Loop: Header=BB4_5 Depth=1
	v_mov_b32_e32 v11, v9
	s_mov_b32 s37, 0
	s_delay_alu instid0(VALU_DEP_1) | instskip(NEXT) | instid1(VALU_DEP_1)
	v_lshlrev_b64_e32 v[28:29], 4, v[10:11]
	v_add_nc_u64_e32 v[26:27], s[8:9], v[28:29]
	v_add_nc_u64_e32 v[28:29], s[6:7], v[28:29]
	s_branch .LBB4_80
.LBB4_78:                               ;   in Loop: Header=BB4_80 Depth=2
	s_or_b32 exec_lo, exec_lo, s42
	s_delay_alu instid0(VALU_DEP_2) | instskip(NEXT) | instid1(VALU_DEP_2)
	v_pk_add_f32 v[6:7], v[6:7], v[8:9]
	v_pk_add_f32 v[4:5], v[4:5], v[34:35]
.LBB4_79:                               ;   in Loop: Header=BB4_80 Depth=2
	s_or_b32 exec_lo, exec_lo, s41
	v_add_nc_u32_e32 v10, 1, v10
	v_add_nc_u64_e32 v[26:27], 16, v[26:27]
	v_add_nc_u64_e32 v[28:29], 16, v[28:29]
	s_delay_alu instid0(VALU_DEP_3) | instskip(SKIP_1) | instid1(SALU_CYCLE_1)
	v_cmp_ge_u32_e32 vcc_lo, v10, v37
	s_or_b32 s37, vcc_lo, s37
	s_and_not1_b32 exec_lo, exec_lo, s37
	s_cbranch_execz .LBB4_83
.LBB4_80:                               ;   Parent Loop BB4_5 Depth=1
                                        ; =>  This Inner Loop Header: Depth=2
	s_mov_b32 s41, exec_lo
	v_cmpx_ne_u32_e64 v20, v10
	s_cbranch_execz .LBB4_79
; %bb.81:                               ;   in Loop: Header=BB4_80 Depth=2
	global_load_b96 v[32:34], v[28:29], off offset:-4
	s_mov_b32 s42, exec_lo
	s_wait_loadcnt 0x0
	v_dual_mov_b32 v30, v33 :: v_dual_mov_b32 v31, v34
	v_sub_f32_e32 v33, v32, v16
	s_delay_alu instid0(VALU_DEP_2) | instskip(NEXT) | instid1(VALU_DEP_1)
	v_pk_add_f32 v[30:31], v[30:31], v[24:25] neg_lo:[0,1] neg_hi:[0,1]
	v_pk_mul_f32 v[34:35], v[30:31], v[30:31]
	s_delay_alu instid0(VALU_DEP_1) | instskip(NEXT) | instid1(VALU_DEP_1)
	v_fma_f32 v8, v33, v33, v34
	v_add_f32_e32 v8, v35, v8
	s_delay_alu instid0(VALU_DEP_1) | instskip(SKIP_1) | instid1(VALU_DEP_2)
	v_mul_f32_e32 v11, 0x4f800000, v8
	v_cmp_gt_f32_e32 vcc_lo, 0xf800000, v8
	v_cndmask_b32_e32 v8, v8, v11, vcc_lo
	s_delay_alu instid0(VALU_DEP_1) | instskip(SKIP_1) | instid1(TRANS32_DEP_1)
	v_sqrt_f32_e32 v11, v8
	v_nop
	v_dual_add_nc_u32 v18, -1, v11 :: v_dual_add_nc_u32 v32, 1, v11
	s_delay_alu instid0(VALU_DEP_1) | instskip(NEXT) | instid1(VALU_DEP_1)
	v_dual_fma_f32 v34, -v18, v11, v8 :: v_dual_fma_f32 v35, -v32, v11, v8
	v_cmp_ge_f32_e64 s0, 0, v34
	s_delay_alu instid0(VALU_DEP_1) | instskip(NEXT) | instid1(VALU_DEP_3)
	v_dual_mov_b32 v34, 0 :: v_dual_cndmask_b32 v11, v11, v18, s0
	v_cmp_lt_f32_e64 s0, 0, v35
	s_delay_alu instid0(VALU_DEP_1) | instskip(NEXT) | instid1(VALU_DEP_1)
	v_dual_mov_b32 v35, 0 :: v_dual_cndmask_b32 v11, v11, v32, s0
	v_mul_f32_e32 v18, 0x37800000, v11
	s_delay_alu instid0(VALU_DEP_1) | instskip(SKIP_1) | instid1(VALU_DEP_1)
	v_cndmask_b32_e32 v11, v11, v18, vcc_lo
	v_cmp_class_f32_e64 vcc_lo, v8, 0x260
	v_dual_cndmask_b32 v18, v11, v8, vcc_lo :: v_dual_mov_b32 v8, 0
	s_delay_alu instid0(VALU_DEP_1)
	v_cmpx_gt_f32_e32 s40, v18
	s_cbranch_execz .LBB4_78
; %bb.82:                               ;   in Loop: Header=BB4_80 Depth=2
	global_load_b96 v[40:42], v[26:27], off offset:-4
	v_div_scale_f32 v8, null, v18, v18, v33
	v_div_scale_f32 v11, null, v18, v18, v31
	;; [unrolled: 1-line block ×3, first 2 shown]
	s_delay_alu instid0(VALU_DEP_3) | instskip(NEXT) | instid1(VALU_DEP_2)
	v_rcp_f32_e32 v34, v8
	v_rcp_f32_e32 v35, v11
	v_div_scale_f32 v43, vcc_lo, v33, v18, v33
	s_delay_alu instid0(VALU_DEP_2) | instskip(SKIP_1) | instid1(TRANS32_DEP_3)
	v_rcp_f32_e32 v39, v32
	v_div_scale_f32 v44, s0, v31, v18, v31
	v_fma_f32 v45, -v8, v34, 1.0
	s_delay_alu instid0(TRANS32_DEP_2) | instskip(SKIP_1) | instid1(TRANS32_DEP_1)
	v_fma_f32 v46, -v11, v35, 1.0
	v_div_scale_f32 v48, s1, v30, v18, v30
	v_fma_f32 v47, -v32, v39, 1.0
	s_delay_alu instid0(VALU_DEP_3) | instskip(NEXT) | instid1(VALU_DEP_1)
	v_dual_fmac_f32 v34, v45, v34 :: v_dual_fmac_f32 v35, v46, v35
	v_dual_mul_f32 v45, v43, v34 :: v_dual_mul_f32 v46, v44, v35
	s_delay_alu instid0(VALU_DEP_1) | instskip(NEXT) | instid1(VALU_DEP_4)
	v_fma_f32 v49, -v8, v45, v43
	v_fmac_f32_e32 v39, v47, v39
	s_delay_alu instid0(VALU_DEP_3) | instskip(NEXT) | instid1(VALU_DEP_2)
	v_fma_f32 v50, -v11, v46, v44
	v_dual_fmac_f32 v45, v49, v34 :: v_dual_mul_f32 v47, v48, v39
	s_delay_alu instid0(VALU_DEP_1) | instskip(NEXT) | instid1(VALU_DEP_2)
	v_dual_fmac_f32 v46, v50, v35 :: v_dual_fma_f32 v8, -v8, v45, v43
	v_fma_f32 v51, -v32, v47, v48
	s_delay_alu instid0(VALU_DEP_2) | instskip(NEXT) | instid1(VALU_DEP_3)
	v_fma_f32 v11, -v11, v46, v44
	v_div_fmas_f32 v8, v8, v34, v45
	s_delay_alu instid0(VALU_DEP_3) | instskip(SKIP_4) | instid1(VALU_DEP_1)
	v_fmac_f32_e32 v47, v51, v39
	s_mov_b32 vcc_lo, s0
	v_mov_b64_e32 v[50:51], s[26:27]
	v_div_fmas_f32 v11, v11, v35, v46
	s_mov_b32 vcc_lo, s1
	v_div_fixup_f32 v45, v11, v18, v31
	v_div_fixup_f32 v11, v8, v18, v33
	s_wait_loadcnt 0x0
	v_dual_mov_b32 v34, v41 :: v_dual_fma_f32 v32, -v32, v47, v48
	v_dual_mov_b32 v35, v42 :: v_dual_mov_b32 v42, s40
	v_mov_b32_e32 v43, v40
	v_mov_b64_e32 v[48:49], s[30:31]
	s_delay_alu instid0(VALU_DEP_4) | instskip(NEXT) | instid1(VALU_DEP_4)
	v_div_fmas_f32 v32, v32, v39, v47
	v_pk_add_f32 v[34:35], v[34:35], v[22:23] neg_lo:[0,1] neg_hi:[0,1]
	v_mov_b64_e32 v[46:47], s[34:35]
	v_pk_add_f32 v[40:41], v[42:43], v[18:19] neg_lo:[0,1] neg_hi:[0,1]
	s_delay_alu instid0(VALU_DEP_4) | instskip(NEXT) | instid1(VALU_DEP_4)
	v_div_fixup_f32 v44, v32, v18, v30
	v_pk_mul_f32 v[48:49], v[48:49], v[34:35]
	s_delay_alu instid0(VALU_DEP_3) | instskip(NEXT) | instid1(VALU_DEP_3)
	v_pk_mul_f32 v[46:47], v[40:41], v[46:47]
	v_pk_mul_f32 v[42:43], v[44:45], v[34:35]
	s_delay_alu instid0(VALU_DEP_2) | instskip(NEXT) | instid1(VALU_DEP_2)
	v_pk_fma_f32 v[48:49], v[44:45], v[46:47], v[48:49] op_sel_hi:[1,0,1]
	v_fma_f32 v8, v11, v41, v42
	s_delay_alu instid0(VALU_DEP_1) | instskip(SKIP_1) | instid1(VALU_DEP_2)
	v_add_f32_e32 v8, v43, v8
	v_mov_b64_e32 v[42:43], s[2:3]
	v_fma_f32 v32, -v11, v8, v41
	v_pk_fma_f32 v[34:35], v[44:45], v[8:9], v[34:35] op_sel_hi:[1,0,1] neg_lo:[1,0,0] neg_hi:[1,0,0]
	v_mov_b64_e32 v[40:41], s[24:25]
	v_fma_f32 v8, v11, v46, v47
	s_delay_alu instid0(VALU_DEP_4) | instskip(NEXT) | instid1(VALU_DEP_4)
	v_pk_mul_f32 v[32:33], v[42:43], v[32:33]
	v_pk_fma_f32 v[34:35], v[50:51], v[34:35], v[48:49]
	s_delay_alu instid0(VALU_DEP_2) | instskip(NEXT) | instid1(VALU_DEP_2)
	v_add_f32_e32 v8, v8, v32
	v_pk_fma_f32 v[30:31], v[40:41], v[30:31], v[34:35]
	s_delay_alu instid0(VALU_DEP_1) | instskip(NEXT) | instid1(VALU_DEP_2)
	v_dual_add_f32 v34, v33, v8 :: v_dual_mov_b32 v8, v31
	v_mov_b32_e32 v35, v30
	s_branch .LBB4_78
.LBB4_83:                               ;   in Loop: Header=BB4_5 Depth=1
	s_or_b32 exec_lo, exec_lo, s37
.LBB4_84:                               ;   in Loop: Header=BB4_5 Depth=1
	s_delay_alu instid0(SALU_CYCLE_1)
	s_or_b32 exec_lo, exec_lo, s36
.LBB4_85:                               ;   in Loop: Header=BB4_5 Depth=1
	s_delay_alu instid0(SALU_CYCLE_1)
	s_or_b32 exec_lo, exec_lo, s29
	v_mad_u32 v8, v36, s21, v38
	s_mov_b32 s29, exec_lo
	global_load_b32 v10, v8, s[12:13] scale_offset
	s_wait_loadcnt 0x0
	v_cmpx_ne_u32_e32 -1, v10
	s_cbranch_execz .LBB4_4
; %bb.86:                               ;   in Loop: Header=BB4_5 Depth=1
	v_lshl_add_u64 v[26:27], v[8:9], 2, s[14:15]
	s_mov_b32 s36, exec_lo
	global_load_b32 v36, v[26:27], off
	s_wait_loadcnt 0x0
	v_cmpx_lt_u32_e64 v10, v36
	s_cbranch_execz .LBB4_3
; %bb.87:                               ;   in Loop: Header=BB4_5 Depth=1
	v_mov_b32_e32 v11, v9
	s_mov_b32 s37, 0
	s_delay_alu instid0(VALU_DEP_1) | instskip(NEXT) | instid1(VALU_DEP_1)
	v_lshlrev_b64_e32 v[28:29], 4, v[10:11]
	v_add_nc_u64_e32 v[26:27], s[8:9], v[28:29]
	v_add_nc_u64_e32 v[28:29], s[6:7], v[28:29]
	s_branch .LBB4_90
.LBB4_88:                               ;   in Loop: Header=BB4_90 Depth=2
	s_or_b32 exec_lo, exec_lo, s42
	s_delay_alu instid0(VALU_DEP_1)
	v_pk_add_f32 v[6:7], v[6:7], v[8:9]
	v_pk_add_f32 v[4:5], v[4:5], v[34:35]
.LBB4_89:                               ;   in Loop: Header=BB4_90 Depth=2
	s_or_b32 exec_lo, exec_lo, s41
	v_add_nc_u32_e32 v10, 1, v10
	v_add_nc_u64_e32 v[26:27], 16, v[26:27]
	v_add_nc_u64_e32 v[28:29], 16, v[28:29]
	s_delay_alu instid0(VALU_DEP_3) | instskip(SKIP_1) | instid1(SALU_CYCLE_1)
	v_cmp_ge_u32_e32 vcc_lo, v10, v36
	s_or_b32 s37, vcc_lo, s37
	s_and_not1_b32 exec_lo, exec_lo, s37
	s_cbranch_execz .LBB4_2
.LBB4_90:                               ;   Parent Loop BB4_5 Depth=1
                                        ; =>  This Inner Loop Header: Depth=2
	s_mov_b32 s41, exec_lo
	v_cmpx_ne_u32_e64 v20, v10
	s_cbranch_execz .LBB4_89
; %bb.91:                               ;   in Loop: Header=BB4_90 Depth=2
	global_load_b96 v[32:34], v[28:29], off offset:-4
	s_mov_b32 s42, exec_lo
	s_wait_loadcnt 0x0
	v_dual_mov_b32 v30, v33 :: v_dual_mov_b32 v31, v34
	v_sub_f32_e32 v33, v32, v16
	s_delay_alu instid0(VALU_DEP_2) | instskip(NEXT) | instid1(VALU_DEP_1)
	v_pk_add_f32 v[30:31], v[30:31], v[24:25] neg_lo:[0,1] neg_hi:[0,1]
	v_pk_mul_f32 v[34:35], v[30:31], v[30:31]
	s_delay_alu instid0(VALU_DEP_1) | instskip(NEXT) | instid1(VALU_DEP_1)
	v_fma_f32 v8, v33, v33, v34
	v_add_f32_e32 v8, v35, v8
	s_delay_alu instid0(VALU_DEP_1) | instskip(SKIP_1) | instid1(VALU_DEP_2)
	v_mul_f32_e32 v11, 0x4f800000, v8
	v_cmp_gt_f32_e32 vcc_lo, 0xf800000, v8
	v_cndmask_b32_e32 v8, v8, v11, vcc_lo
	s_delay_alu instid0(VALU_DEP_1) | instskip(SKIP_1) | instid1(TRANS32_DEP_1)
	v_sqrt_f32_e32 v11, v8
	v_nop
	v_dual_add_nc_u32 v18, -1, v11 :: v_dual_add_nc_u32 v32, 1, v11
	s_delay_alu instid0(VALU_DEP_1) | instskip(NEXT) | instid1(VALU_DEP_1)
	v_dual_fma_f32 v34, -v18, v11, v8 :: v_dual_fma_f32 v35, -v32, v11, v8
	v_cmp_ge_f32_e64 s0, 0, v34
	s_delay_alu instid0(VALU_DEP_1) | instskip(NEXT) | instid1(VALU_DEP_3)
	v_dual_mov_b32 v34, 0 :: v_dual_cndmask_b32 v11, v11, v18, s0
	v_cmp_lt_f32_e64 s0, 0, v35
	s_delay_alu instid0(VALU_DEP_1) | instskip(NEXT) | instid1(VALU_DEP_1)
	v_dual_mov_b32 v35, 0 :: v_dual_cndmask_b32 v11, v11, v32, s0
	v_mul_f32_e32 v18, 0x37800000, v11
	s_delay_alu instid0(VALU_DEP_1) | instskip(SKIP_1) | instid1(VALU_DEP_1)
	v_cndmask_b32_e32 v11, v11, v18, vcc_lo
	v_cmp_class_f32_e64 vcc_lo, v8, 0x260
	v_dual_cndmask_b32 v18, v11, v8, vcc_lo :: v_dual_mov_b32 v8, 0
	s_delay_alu instid0(VALU_DEP_1)
	v_cmpx_gt_f32_e32 s40, v18
	s_cbranch_execz .LBB4_88
; %bb.92:                               ;   in Loop: Header=BB4_90 Depth=2
	global_load_b96 v[38:40], v[26:27], off offset:-4
	v_div_scale_f32 v8, null, v18, v18, v33
	v_div_scale_f32 v11, null, v18, v18, v31
	;; [unrolled: 1-line block ×3, first 2 shown]
	s_delay_alu instid0(VALU_DEP_3) | instskip(NEXT) | instid1(VALU_DEP_2)
	v_rcp_f32_e32 v34, v8
	v_rcp_f32_e32 v35, v11
	v_div_scale_f32 v41, vcc_lo, v33, v18, v33
	s_delay_alu instid0(VALU_DEP_2) | instskip(SKIP_1) | instid1(TRANS32_DEP_3)
	v_rcp_f32_e32 v37, v32
	v_div_scale_f32 v42, s0, v31, v18, v31
	v_fma_f32 v43, -v8, v34, 1.0
	s_delay_alu instid0(TRANS32_DEP_2) | instskip(SKIP_1) | instid1(TRANS32_DEP_1)
	v_fma_f32 v44, -v11, v35, 1.0
	v_div_scale_f32 v46, s1, v30, v18, v30
	v_fma_f32 v45, -v32, v37, 1.0
	s_delay_alu instid0(VALU_DEP_3) | instskip(NEXT) | instid1(VALU_DEP_1)
	v_dual_fmac_f32 v34, v43, v34 :: v_dual_fmac_f32 v35, v44, v35
	v_dual_fmac_f32 v37, v45, v37 :: v_dual_mul_f32 v44, v42, v35
	s_delay_alu instid0(VALU_DEP_1) | instskip(NEXT) | instid1(VALU_DEP_1)
	v_dual_mul_f32 v43, v41, v34 :: v_dual_mul_f32 v45, v46, v37
	v_dual_fma_f32 v48, -v11, v44, v42 :: v_dual_fma_f32 v47, -v8, v43, v41
	s_delay_alu instid0(VALU_DEP_1) | instskip(NEXT) | instid1(VALU_DEP_1)
	v_dual_fma_f32 v49, -v32, v45, v46 :: v_dual_fmac_f32 v43, v47, v34
	v_dual_fmac_f32 v44, v48, v35 :: v_dual_fmac_f32 v45, v49, v37
	v_mov_b64_e32 v[48:49], s[26:27]
	s_delay_alu instid0(VALU_DEP_2) | instskip(NEXT) | instid1(VALU_DEP_3)
	v_dual_fma_f32 v8, -v8, v43, v41 :: v_dual_fma_f32 v11, -v11, v44, v42
	v_fma_f32 v32, -v32, v45, v46
	v_mov_b64_e32 v[46:47], s[30:31]
	s_delay_alu instid0(VALU_DEP_3) | instskip(SKIP_3) | instid1(VALU_DEP_1)
	v_div_fmas_f32 v8, v8, v34, v43
	s_mov_b32 vcc_lo, s0
	v_div_fmas_f32 v11, v11, v35, v44
	s_mov_b32 vcc_lo, s1
	v_div_fixup_f32 v43, v11, v18, v31
	v_div_fixup_f32 v11, v8, v18, v33
	s_wait_loadcnt 0x0
	v_mov_b32_e32 v34, v39
	v_div_fmas_f32 v32, v32, v37, v45
	v_dual_mov_b32 v35, v40 :: v_dual_mov_b32 v40, s40
	v_mov_b32_e32 v41, v38
	v_mov_b64_e32 v[44:45], s[34:35]
	s_delay_alu instid0(VALU_DEP_4) | instskip(NEXT) | instid1(VALU_DEP_4)
	v_div_fixup_f32 v42, v32, v18, v30
	v_pk_add_f32 v[34:35], v[34:35], v[22:23] neg_lo:[0,1] neg_hi:[0,1]
	s_delay_alu instid0(VALU_DEP_4) | instskip(NEXT) | instid1(VALU_DEP_2)
	v_pk_add_f32 v[38:39], v[40:41], v[18:19] neg_lo:[0,1] neg_hi:[0,1]
	v_pk_mul_f32 v[40:41], v[42:43], v[34:35]
	v_pk_mul_f32 v[46:47], v[46:47], v[34:35]
	s_delay_alu instid0(VALU_DEP_3) | instskip(NEXT) | instid1(VALU_DEP_3)
	v_pk_mul_f32 v[44:45], v[38:39], v[44:45]
	v_fma_f32 v8, v11, v39, v40
	s_delay_alu instid0(VALU_DEP_2) | instskip(NEXT) | instid1(VALU_DEP_2)
	v_pk_fma_f32 v[46:47], v[42:43], v[44:45], v[46:47] op_sel_hi:[1,0,1]
	v_add_f32_e32 v8, v41, v8
	v_mov_b64_e32 v[40:41], s[2:3]
	s_delay_alu instid0(VALU_DEP_2) | instskip(SKIP_3) | instid1(VALU_DEP_4)
	v_fma_f32 v32, -v11, v8, v39
	v_pk_fma_f32 v[34:35], v[42:43], v[8:9], v[34:35] op_sel_hi:[1,0,1] neg_lo:[1,0,0] neg_hi:[1,0,0]
	v_mov_b64_e32 v[38:39], s[24:25]
	v_fma_f32 v8, v11, v44, v45
	v_pk_mul_f32 v[32:33], v[40:41], v[32:33]
	s_delay_alu instid0(VALU_DEP_4) | instskip(NEXT) | instid1(VALU_DEP_2)
	v_pk_fma_f32 v[34:35], v[48:49], v[34:35], v[46:47]
	v_add_f32_e32 v8, v8, v32
	s_delay_alu instid0(VALU_DEP_2) | instskip(NEXT) | instid1(VALU_DEP_1)
	v_pk_fma_f32 v[30:31], v[38:39], v[30:31], v[34:35]
	v_dual_add_f32 v34, v33, v8 :: v_dual_mov_b32 v35, v30
	s_delay_alu instid0(VALU_DEP_2)
	v_mov_b32_e32 v8, v31
	s_branch .LBB4_88
.LBB4_93:
	v_dual_mov_b32 v8, s17 :: v_dual_mov_b32 v9, s18
	s_add_f32 s7, s19, s20
	s_mov_b32 s6, exec_lo
	v_mov_b32_e32 v17, 0
	s_delay_alu instid0(VALU_DEP_2) | instskip(NEXT) | instid1(VALU_DEP_1)
	v_pk_add_f32 v[8:9], v[8:9], v[24:25] neg_lo:[0,1] neg_hi:[0,1]
	v_pk_mul_f32 v[10:11], v[8:9], v[8:9]
	v_sub_f32_e32 v13, s16, v16
	s_delay_alu instid0(VALU_DEP_1) | instskip(NEXT) | instid1(VALU_DEP_1)
	v_fma_f32 v10, v13, v13, v10
	v_add_f32_e32 v10, v11, v10
	s_delay_alu instid0(VALU_DEP_1) | instskip(SKIP_1) | instid1(VALU_DEP_2)
	v_mul_f32_e32 v11, 0x4f800000, v10
	v_cmp_gt_f32_e32 vcc_lo, 0xf800000, v10
	v_cndmask_b32_e32 v10, v10, v11, vcc_lo
	s_delay_alu instid0(VALU_DEP_1) | instskip(SKIP_1) | instid1(TRANS32_DEP_1)
	v_sqrt_f32_e32 v11, v10
	v_nop
	v_dual_add_nc_u32 v12, -1, v11 :: v_dual_add_nc_u32 v14, 1, v11
	s_delay_alu instid0(VALU_DEP_1) | instskip(NEXT) | instid1(VALU_DEP_1)
	v_dual_fma_f32 v15, -v12, v11, v10 :: v_dual_fma_f32 v16, -v14, v11, v10
	v_cmp_ge_f32_e64 s0, 0, v15
	s_delay_alu instid0(VALU_DEP_1) | instskip(NEXT) | instid1(VALU_DEP_3)
	v_cndmask_b32_e64 v11, v11, v12, s0
	v_cmp_lt_f32_e64 s0, 0, v16
	s_delay_alu instid0(VALU_DEP_1) | instskip(NEXT) | instid1(VALU_DEP_1)
	v_dual_mov_b32 v16, 0 :: v_dual_cndmask_b32 v11, v11, v14, s0
	v_mul_f32_e32 v12, 0x37800000, v11
	s_delay_alu instid0(VALU_DEP_1) | instskip(SKIP_1) | instid1(VALU_DEP_1)
	v_cndmask_b32_e32 v11, v11, v12, vcc_lo
	v_cmp_class_f32_e64 vcc_lo, v10, 0x260
	v_dual_cndmask_b32 v15, v11, v10, vcc_lo :: v_dual_mov_b32 v11, 0
	v_mov_b32_e32 v10, 0
	s_delay_alu instid0(VALU_DEP_2)
	v_cmpx_gt_f32_e32 s7, v15
	s_cbranch_execz .LBB4_95
; %bb.94:
	v_div_scale_f32 v10, null, v15, v15, v13
	v_div_scale_f32 v12, null, v15, v15, v9
	;; [unrolled: 1-line block ×3, first 2 shown]
	s_delay_alu instid0(VALU_DEP_3) | instskip(NEXT) | instid1(VALU_DEP_2)
	v_rcp_f32_e32 v17, v10
	v_rcp_f32_e32 v18, v12
	v_div_scale_f32 v24, vcc_lo, v13, v15, v13
	s_delay_alu instid0(VALU_DEP_2) | instskip(SKIP_1) | instid1(TRANS32_DEP_3)
	v_rcp_f32_e32 v19, v14
	v_div_scale_f32 v26, s0, v9, v15, v9
	v_fma_f32 v16, -v10, v17, 1.0
	s_delay_alu instid0(TRANS32_DEP_2) | instskip(NEXT) | instid1(TRANS32_DEP_1)
	v_fma_f32 v25, -v12, v18, 1.0
	v_fma_f32 v27, -v14, v19, 1.0
	s_delay_alu instid0(VALU_DEP_2) | instskip(SKIP_1) | instid1(VALU_DEP_2)
	v_dual_fmac_f32 v17, v16, v17 :: v_dual_fmac_f32 v18, v25, v18
	v_div_scale_f32 v25, s1, v8, v15, v8
	v_dual_fmac_f32 v19, v27, v19 :: v_dual_mul_f32 v27, v24, v17
	s_delay_alu instid0(VALU_DEP_1) | instskip(NEXT) | instid1(VALU_DEP_1)
	v_dual_mul_f32 v28, v26, v18 :: v_dual_mul_f32 v29, v25, v19
	v_dual_fma_f32 v16, -v10, v27, v24 :: v_dual_fma_f32 v30, -v12, v28, v26
	s_delay_alu instid0(VALU_DEP_2) | instskip(NEXT) | instid1(VALU_DEP_2)
	v_fma_f32 v31, -v14, v29, v25
	v_dual_fmac_f32 v27, v16, v17 :: v_dual_fmac_f32 v28, v30, v18
	s_delay_alu instid0(VALU_DEP_2) | instskip(NEXT) | instid1(VALU_DEP_2)
	v_dual_mov_b32 v16, 0 :: v_dual_fmac_f32 v29, v31, v19
	v_dual_fma_f32 v10, -v10, v27, v24 :: v_dual_fma_f32 v12, -v12, v28, v26
	v_mov_b64_e32 v[30:31], s[26:27]
	s_delay_alu instid0(VALU_DEP_3) | instskip(NEXT) | instid1(VALU_DEP_3)
	v_fma_f32 v14, -v14, v29, v25
	v_div_fmas_f32 v10, v10, v17, v27
	s_mov_b32 vcc_lo, s0
	v_mov_b32_e32 v17, s7
	v_div_fmas_f32 v12, v12, v18, v28
	s_mov_b32 vcc_lo, s1
	v_mov_b32_e32 v25, s34
	v_div_fmas_f32 v24, v14, v19, v29
	v_mov_b32_e32 v14, v0
	v_pk_add_f32 v[18:19], v[22:23], 0 op_sel_hi:[1,0] neg_lo:[1,0] neg_hi:[1,0]
	v_div_fixup_f32 v23, v12, v15, v9
	v_div_fixup_f32 v32, v10, v15, v13
	;; [unrolled: 1-line block ×3, first 2 shown]
	v_mov_b32_e32 v24, s28
	v_pk_add_f32 v[16:17], v[16:17], v[14:15] neg_lo:[0,1] neg_hi:[0,1]
	v_mov_b64_e32 v[26:27], s[30:31]
	s_delay_alu instid0(VALU_DEP_4) | instskip(NEXT) | instid1(VALU_DEP_3)
	v_pk_mul_f32 v[14:15], v[18:19], v[22:23]
	v_pk_mul_f32 v[24:25], v[24:25], v[16:17]
	s_delay_alu instid0(VALU_DEP_2) | instskip(NEXT) | instid1(VALU_DEP_2)
	v_fma_f32 v10, v16, v32, v14
	v_pk_mul_f32 v[28:29], v[22:23], v[24:25] op_sel:[0,1]
	s_delay_alu instid0(VALU_DEP_2) | instskip(SKIP_1) | instid1(VALU_DEP_3)
	v_add_f32_e32 v10, v15, v10
	v_mov_b64_e32 v[14:15], s[2:3]
	v_pk_fma_f32 v[26:27], v[26:27], v[18:19], v[28:29]
	s_delay_alu instid0(VALU_DEP_3) | instskip(SKIP_3) | instid1(VALU_DEP_4)
	v_fma_f32 v12, -v32, v10, v16
	v_pk_fma_f32 v[16:17], v[22:23], v[10:11], v[18:19] op_sel_hi:[1,0,1] neg_lo:[1,0,0] neg_hi:[1,0,0]
	v_mov_b64_e32 v[18:19], s[24:25]
	v_fma_f32 v10, v32, v25, v24
	v_pk_mul_f32 v[12:13], v[14:15], v[12:13]
	s_delay_alu instid0(VALU_DEP_4) | instskip(NEXT) | instid1(VALU_DEP_2)
	v_pk_fma_f32 v[14:15], v[30:31], v[16:17], v[26:27]
	v_add_f32_e32 v10, v10, v12
	s_delay_alu instid0(VALU_DEP_2) | instskip(NEXT) | instid1(VALU_DEP_1)
	v_pk_fma_f32 v[8:9], v[18:19], v[8:9], v[14:15]
	v_dual_add_f32 v16, v13, v10 :: v_dual_mov_b32 v17, v8
	s_delay_alu instid0(VALU_DEP_2)
	v_mov_b32_e32 v10, v9
.LBB4_95:
	s_or_b32 exec_lo, exec_lo, s6
	v_lshl_add_u64 v[8:9], v[20:21], 2, s[10:11]
	s_delay_alu instid0(VALU_DEP_2)
	v_pk_add_f32 v[6:7], v[6:7], v[10:11]
	v_pk_add_f32 v[4:5], v[4:5], v[16:17]
	global_load_b32 v8, v[8:9], off
	v_pk_add_f32 v[2:3], v[2:3], v[6:7]
	v_pk_add_f32 v[0:1], v[0:1], v[4:5]
	s_wait_loadcnt 0x0
	global_store_b128 v8, v[0:3], s[4:5] scale_offset
.LBB4_96:
	s_endpgm
	.section	.rodata,"a",@progbits
	.p2align	6, 0x0
	.amdhsa_kernel _Z8collideKP15HIP_vector_typeIfLj4EEPKS0_S3_PKjS5_S5_11simParams_tj
		.amdhsa_group_segment_fixed_size 0
		.amdhsa_private_segment_fixed_size 0
		.amdhsa_kernarg_size 416
		.amdhsa_user_sgpr_count 2
		.amdhsa_user_sgpr_dispatch_ptr 0
		.amdhsa_user_sgpr_queue_ptr 0
		.amdhsa_user_sgpr_kernarg_segment_ptr 1
		.amdhsa_user_sgpr_dispatch_id 0
		.amdhsa_user_sgpr_kernarg_preload_length 0
		.amdhsa_user_sgpr_kernarg_preload_offset 0
		.amdhsa_user_sgpr_private_segment_size 0
		.amdhsa_wavefront_size32 1
		.amdhsa_uses_dynamic_stack 0
		.amdhsa_enable_private_segment 0
		.amdhsa_system_sgpr_workgroup_id_x 1
		.amdhsa_system_sgpr_workgroup_id_y 0
		.amdhsa_system_sgpr_workgroup_id_z 0
		.amdhsa_system_sgpr_workgroup_info 0
		.amdhsa_system_vgpr_workitem_id 0
		.amdhsa_next_free_vgpr 54
		.amdhsa_next_free_sgpr 43
		.amdhsa_named_barrier_count 0
		.amdhsa_reserve_vcc 1
		.amdhsa_float_round_mode_32 0
		.amdhsa_float_round_mode_16_64 0
		.amdhsa_float_denorm_mode_32 3
		.amdhsa_float_denorm_mode_16_64 3
		.amdhsa_fp16_overflow 0
		.amdhsa_memory_ordered 1
		.amdhsa_forward_progress 1
		.amdhsa_inst_pref_size 76
		.amdhsa_round_robin_scheduling 0
		.amdhsa_exception_fp_ieee_invalid_op 0
		.amdhsa_exception_fp_denorm_src 0
		.amdhsa_exception_fp_ieee_div_zero 0
		.amdhsa_exception_fp_ieee_overflow 0
		.amdhsa_exception_fp_ieee_underflow 0
		.amdhsa_exception_fp_ieee_inexact 0
		.amdhsa_exception_int_div_zero 0
	.end_amdhsa_kernel
	.text
.Lfunc_end4:
	.size	_Z8collideKP15HIP_vector_typeIfLj4EEPKS0_S3_PKjS5_S5_11simParams_tj, .Lfunc_end4-_Z8collideKP15HIP_vector_typeIfLj4EEPKS0_S3_PKjS5_S5_11simParams_tj
                                        ; -- End function
	.set _Z8collideKP15HIP_vector_typeIfLj4EEPKS0_S3_PKjS5_S5_11simParams_tj.num_vgpr, 54
	.set _Z8collideKP15HIP_vector_typeIfLj4EEPKS0_S3_PKjS5_S5_11simParams_tj.num_agpr, 0
	.set _Z8collideKP15HIP_vector_typeIfLj4EEPKS0_S3_PKjS5_S5_11simParams_tj.numbered_sgpr, 43
	.set _Z8collideKP15HIP_vector_typeIfLj4EEPKS0_S3_PKjS5_S5_11simParams_tj.num_named_barrier, 0
	.set _Z8collideKP15HIP_vector_typeIfLj4EEPKS0_S3_PKjS5_S5_11simParams_tj.private_seg_size, 0
	.set _Z8collideKP15HIP_vector_typeIfLj4EEPKS0_S3_PKjS5_S5_11simParams_tj.uses_vcc, 1
	.set _Z8collideKP15HIP_vector_typeIfLj4EEPKS0_S3_PKjS5_S5_11simParams_tj.uses_flat_scratch, 0
	.set _Z8collideKP15HIP_vector_typeIfLj4EEPKS0_S3_PKjS5_S5_11simParams_tj.has_dyn_sized_stack, 0
	.set _Z8collideKP15HIP_vector_typeIfLj4EEPKS0_S3_PKjS5_S5_11simParams_tj.has_recursion, 0
	.set _Z8collideKP15HIP_vector_typeIfLj4EEPKS0_S3_PKjS5_S5_11simParams_tj.has_indirect_call, 0
	.section	.AMDGPU.csdata,"",@progbits
; Kernel info:
; codeLenInByte = 9616
; TotalNumSgprs: 45
; NumVgprs: 54
; ScratchSize: 0
; MemoryBound: 0
; FloatMode: 240
; IeeeMode: 1
; LDSByteSize: 0 bytes/workgroup (compile time only)
; SGPRBlocks: 0
; VGPRBlocks: 3
; NumSGPRsForWavesPerEU: 45
; NumVGPRsForWavesPerEU: 54
; NamedBarCnt: 0
; Occupancy: 16
; WaveLimiterHint : 1
; COMPUTE_PGM_RSRC2:SCRATCH_EN: 0
; COMPUTE_PGM_RSRC2:USER_SGPR: 2
; COMPUTE_PGM_RSRC2:TRAP_HANDLER: 0
; COMPUTE_PGM_RSRC2:TGID_X_EN: 1
; COMPUTE_PGM_RSRC2:TGID_Y_EN: 0
; COMPUTE_PGM_RSRC2:TGID_Z_EN: 0
; COMPUTE_PGM_RSRC2:TIDIG_COMP_CNT: 0
	.text
	.p2alignl 7, 3214868480
	.fill 96, 4, 3214868480
	.section	.AMDGPU.gpr_maximums,"",@progbits
	.set amdgpu.max_num_vgpr, 0
	.set amdgpu.max_num_agpr, 0
	.set amdgpu.max_num_sgpr, 0
	.text
	.type	__hip_cuid_124a84cb87e38409,@object ; @__hip_cuid_124a84cb87e38409
	.section	.bss,"aw",@nobits
	.globl	__hip_cuid_124a84cb87e38409
__hip_cuid_124a84cb87e38409:
	.byte	0                               ; 0x0
	.size	__hip_cuid_124a84cb87e38409, 1

	.ident	"AMD clang version 22.0.0git (https://github.com/RadeonOpenCompute/llvm-project roc-7.2.4 26084 f58b06dce1f9c15707c5f808fd002e18c2accf7e)"
	.section	".note.GNU-stack","",@progbits
	.addrsig
	.addrsig_sym __hip_cuid_124a84cb87e38409
	.amdgpu_metadata
---
amdhsa.kernels:
  - .args:
      - .address_space:  global
        .offset:         0
        .size:           8
        .value_kind:     global_buffer
      - .address_space:  global
        .offset:         8
        .size:           8
        .value_kind:     global_buffer
      - .offset:         16
        .size:           104
        .value_kind:     by_value
      - .offset:         120
        .size:           4
        .value_kind:     by_value
      - .offset:         124
        .size:           4
        .value_kind:     by_value
      - .offset:         128
        .size:           4
        .value_kind:     hidden_block_count_x
      - .offset:         132
        .size:           4
        .value_kind:     hidden_block_count_y
      - .offset:         136
        .size:           4
        .value_kind:     hidden_block_count_z
      - .offset:         140
        .size:           2
        .value_kind:     hidden_group_size_x
      - .offset:         142
        .size:           2
        .value_kind:     hidden_group_size_y
      - .offset:         144
        .size:           2
        .value_kind:     hidden_group_size_z
      - .offset:         146
        .size:           2
        .value_kind:     hidden_remainder_x
      - .offset:         148
        .size:           2
        .value_kind:     hidden_remainder_y
      - .offset:         150
        .size:           2
        .value_kind:     hidden_remainder_z
      - .offset:         168
        .size:           8
        .value_kind:     hidden_global_offset_x
      - .offset:         176
        .size:           8
        .value_kind:     hidden_global_offset_y
      - .offset:         184
        .size:           8
        .value_kind:     hidden_global_offset_z
      - .offset:         192
        .size:           2
        .value_kind:     hidden_grid_dims
    .group_segment_fixed_size: 0
    .kernarg_segment_align: 8
    .kernarg_segment_size: 384
    .language:       OpenCL C
    .language_version:
      - 2
      - 0
    .max_flat_workgroup_size: 1024
    .name:           _Z16integrateSystemKP15HIP_vector_typeIfLj4EES1_11simParams_tfj
    .private_segment_fixed_size: 0
    .sgpr_count:     17
    .sgpr_spill_count: 0
    .symbol:         _Z16integrateSystemKP15HIP_vector_typeIfLj4EES1_11simParams_tfj.kd
    .uniform_work_group_size: 1
    .uses_dynamic_stack: false
    .vgpr_count:     16
    .vgpr_spill_count: 0
    .wavefront_size: 32
  - .args:
      - .actual_access:  write_only
        .address_space:  global
        .offset:         0
        .size:           8
        .value_kind:     global_buffer
      - .actual_access:  write_only
        .address_space:  global
        .offset:         8
        .size:           8
        .value_kind:     global_buffer
      - .actual_access:  read_only
        .address_space:  global
        .offset:         16
        .size:           8
        .value_kind:     global_buffer
      - .offset:         24
        .size:           104
        .value_kind:     by_value
      - .offset:         128
        .size:           4
        .value_kind:     by_value
      - .offset:         136
        .size:           4
        .value_kind:     hidden_block_count_x
      - .offset:         140
        .size:           4
        .value_kind:     hidden_block_count_y
      - .offset:         144
        .size:           4
        .value_kind:     hidden_block_count_z
      - .offset:         148
        .size:           2
        .value_kind:     hidden_group_size_x
      - .offset:         150
        .size:           2
        .value_kind:     hidden_group_size_y
      - .offset:         152
        .size:           2
        .value_kind:     hidden_group_size_z
      - .offset:         154
        .size:           2
        .value_kind:     hidden_remainder_x
      - .offset:         156
        .size:           2
        .value_kind:     hidden_remainder_y
      - .offset:         158
        .size:           2
        .value_kind:     hidden_remainder_z
      - .offset:         176
        .size:           8
        .value_kind:     hidden_global_offset_x
      - .offset:         184
        .size:           8
        .value_kind:     hidden_global_offset_y
      - .offset:         192
        .size:           8
        .value_kind:     hidden_global_offset_z
      - .offset:         200
        .size:           2
        .value_kind:     hidden_grid_dims
    .group_segment_fixed_size: 0
    .kernarg_segment_align: 8
    .kernarg_segment_size: 392
    .language:       OpenCL C
    .language_version:
      - 2
      - 0
    .max_flat_workgroup_size: 1024
    .name:           _Z9calcHashKPjS_PK15HIP_vector_typeIfLj4EE11simParams_tj
    .private_segment_fixed_size: 0
    .sgpr_count:     12
    .sgpr_spill_count: 0
    .symbol:         _Z9calcHashKPjS_PK15HIP_vector_typeIfLj4EE11simParams_tj.kd
    .uniform_work_group_size: 1
    .uses_dynamic_stack: false
    .vgpr_count:     19
    .vgpr_spill_count: 0
    .wavefront_size: 32
  - .args:
      - .address_space:  global
        .offset:         0
        .size:           8
        .value_kind:     global_buffer
      - .offset:         8
        .size:           4
        .value_kind:     by_value
      - .offset:         12
        .size:           4
        .value_kind:     by_value
      - .offset:         16
        .size:           4
        .value_kind:     hidden_block_count_x
      - .offset:         20
        .size:           4
        .value_kind:     hidden_block_count_y
      - .offset:         24
        .size:           4
        .value_kind:     hidden_block_count_z
      - .offset:         28
        .size:           2
        .value_kind:     hidden_group_size_x
      - .offset:         30
        .size:           2
        .value_kind:     hidden_group_size_y
      - .offset:         32
        .size:           2
        .value_kind:     hidden_group_size_z
      - .offset:         34
        .size:           2
        .value_kind:     hidden_remainder_x
      - .offset:         36
        .size:           2
        .value_kind:     hidden_remainder_y
      - .offset:         38
        .size:           2
        .value_kind:     hidden_remainder_z
      - .offset:         56
        .size:           8
        .value_kind:     hidden_global_offset_x
      - .offset:         64
        .size:           8
        .value_kind:     hidden_global_offset_y
      - .offset:         72
        .size:           8
        .value_kind:     hidden_global_offset_z
      - .offset:         80
        .size:           2
        .value_kind:     hidden_grid_dims
    .group_segment_fixed_size: 0
    .kernarg_segment_align: 8
    .kernarg_segment_size: 272
    .language:       OpenCL C
    .language_version:
      - 2
      - 0
    .max_flat_workgroup_size: 1024
    .name:           _Z7memSetKPjjj
    .private_segment_fixed_size: 0
    .sgpr_count:     10
    .sgpr_spill_count: 0
    .symbol:         _Z7memSetKPjjj.kd
    .uniform_work_group_size: 1
    .uses_dynamic_stack: false
    .vgpr_count:     2
    .vgpr_spill_count: 0
    .wavefront_size: 32
  - .args:
      - .actual_access:  write_only
        .address_space:  global
        .offset:         0
        .size:           8
        .value_kind:     global_buffer
      - .actual_access:  write_only
        .address_space:  global
        .offset:         8
        .size:           8
        .value_kind:     global_buffer
      - .actual_access:  write_only
        .address_space:  global
        .offset:         16
        .size:           8
        .value_kind:     global_buffer
      - .actual_access:  write_only
        .address_space:  global
        .offset:         24
        .size:           8
        .value_kind:     global_buffer
      - .actual_access:  read_only
        .address_space:  global
        .offset:         32
        .size:           8
        .value_kind:     global_buffer
      - .actual_access:  read_only
        .address_space:  global
        .offset:         40
        .size:           8
        .value_kind:     global_buffer
      - .actual_access:  read_only
        .address_space:  global
        .offset:         48
        .size:           8
        .value_kind:     global_buffer
      - .actual_access:  read_only
        .address_space:  global
        .offset:         56
        .size:           8
        .value_kind:     global_buffer
      - .offset:         64
        .size:           4
        .value_kind:     by_value
      - .offset:         72
        .size:           4
        .value_kind:     hidden_block_count_x
      - .offset:         76
        .size:           4
        .value_kind:     hidden_block_count_y
      - .offset:         80
        .size:           4
        .value_kind:     hidden_block_count_z
      - .offset:         84
        .size:           2
        .value_kind:     hidden_group_size_x
      - .offset:         86
        .size:           2
        .value_kind:     hidden_group_size_y
      - .offset:         88
        .size:           2
        .value_kind:     hidden_group_size_z
      - .offset:         90
        .size:           2
        .value_kind:     hidden_remainder_x
      - .offset:         92
        .size:           2
        .value_kind:     hidden_remainder_y
      - .offset:         94
        .size:           2
        .value_kind:     hidden_remainder_z
      - .offset:         112
        .size:           8
        .value_kind:     hidden_global_offset_x
      - .offset:         120
        .size:           8
        .value_kind:     hidden_global_offset_y
      - .offset:         128
        .size:           8
        .value_kind:     hidden_global_offset_z
      - .offset:         136
        .size:           2
        .value_kind:     hidden_grid_dims
      - .offset:         192
        .size:           4
        .value_kind:     hidden_dynamic_lds_size
    .group_segment_fixed_size: 0
    .kernarg_segment_align: 8
    .kernarg_segment_size: 328
    .language:       OpenCL C
    .language_version:
      - 2
      - 0
    .max_flat_workgroup_size: 1024
    .name:           _Z25findCellBoundsAndReorderKPjS_P15HIP_vector_typeIfLj4EES2_PKjS4_PKS1_S6_j
    .private_segment_fixed_size: 0
    .sgpr_count:     20
    .sgpr_spill_count: 0
    .symbol:         _Z25findCellBoundsAndReorderKPjS_P15HIP_vector_typeIfLj4EES2_PKjS4_PKS1_S6_j.kd
    .uniform_work_group_size: 1
    .uses_dynamic_stack: false
    .vgpr_count:     10
    .vgpr_spill_count: 0
    .wavefront_size: 32
  - .args:
      - .actual_access:  write_only
        .address_space:  global
        .offset:         0
        .size:           8
        .value_kind:     global_buffer
      - .actual_access:  read_only
        .address_space:  global
        .offset:         8
        .size:           8
        .value_kind:     global_buffer
      - .actual_access:  read_only
        .address_space:  global
        .offset:         16
        .size:           8
        .value_kind:     global_buffer
      - .actual_access:  read_only
        .address_space:  global
        .offset:         24
        .size:           8
        .value_kind:     global_buffer
      - .actual_access:  read_only
        .address_space:  global
        .offset:         32
        .size:           8
        .value_kind:     global_buffer
      - .actual_access:  read_only
        .address_space:  global
        .offset:         40
        .size:           8
        .value_kind:     global_buffer
      - .offset:         48
        .size:           104
        .value_kind:     by_value
      - .offset:         152
        .size:           4
        .value_kind:     by_value
      - .offset:         160
        .size:           4
        .value_kind:     hidden_block_count_x
      - .offset:         164
        .size:           4
        .value_kind:     hidden_block_count_y
      - .offset:         168
        .size:           4
        .value_kind:     hidden_block_count_z
      - .offset:         172
        .size:           2
        .value_kind:     hidden_group_size_x
      - .offset:         174
        .size:           2
        .value_kind:     hidden_group_size_y
      - .offset:         176
        .size:           2
        .value_kind:     hidden_group_size_z
      - .offset:         178
        .size:           2
        .value_kind:     hidden_remainder_x
      - .offset:         180
        .size:           2
        .value_kind:     hidden_remainder_y
      - .offset:         182
        .size:           2
        .value_kind:     hidden_remainder_z
      - .offset:         200
        .size:           8
        .value_kind:     hidden_global_offset_x
      - .offset:         208
        .size:           8
        .value_kind:     hidden_global_offset_y
      - .offset:         216
        .size:           8
        .value_kind:     hidden_global_offset_z
      - .offset:         224
        .size:           2
        .value_kind:     hidden_grid_dims
    .group_segment_fixed_size: 0
    .kernarg_segment_align: 8
    .kernarg_segment_size: 416
    .language:       OpenCL C
    .language_version:
      - 2
      - 0
    .max_flat_workgroup_size: 1024
    .name:           _Z8collideKP15HIP_vector_typeIfLj4EEPKS0_S3_PKjS5_S5_11simParams_tj
    .private_segment_fixed_size: 0
    .sgpr_count:     45
    .sgpr_spill_count: 0
    .symbol:         _Z8collideKP15HIP_vector_typeIfLj4EEPKS0_S3_PKjS5_S5_11simParams_tj.kd
    .uniform_work_group_size: 1
    .uses_dynamic_stack: false
    .vgpr_count:     54
    .vgpr_spill_count: 0
    .wavefront_size: 32
amdhsa.target:   amdgcn-amd-amdhsa--gfx1250
amdhsa.version:
  - 1
  - 2
...

	.end_amdgpu_metadata
